;; amdgpu-corpus repo=ROCm/rocFFT kind=compiled arch=gfx950 opt=O3
	.text
	.amdgcn_target "amdgcn-amd-amdhsa--gfx950"
	.amdhsa_code_object_version 6
	.protected	bluestein_single_back_len594_dim1_half_op_CI_CI ; -- Begin function bluestein_single_back_len594_dim1_half_op_CI_CI
	.globl	bluestein_single_back_len594_dim1_half_op_CI_CI
	.p2align	8
	.type	bluestein_single_back_len594_dim1_half_op_CI_CI,@function
bluestein_single_back_len594_dim1_half_op_CI_CI: ; @bluestein_single_back_len594_dim1_half_op_CI_CI
; %bb.0:
	s_load_dwordx4 s[8:11], s[0:1], 0x28
	v_mul_u32_u24_e32 v1, 0x296, v0
	v_mov_b32_e32 v5, 0
	v_add_u32_sdwa v6, s2, v1 dst_sel:DWORD dst_unused:UNUSED_PAD src0_sel:DWORD src1_sel:WORD_1
	v_mov_b32_e32 v7, v5
	s_waitcnt lgkmcnt(0)
	v_cmp_gt_u64_e32 vcc, s[8:9], v[6:7]
	s_and_saveexec_b64 s[2:3], vcc
	s_cbranch_execz .LBB0_15
; %bb.1:
	s_load_dwordx2 s[12:13], s[0:1], 0x0
	s_load_dwordx2 s[2:3], s[0:1], 0x38
	s_movk_i32 s4, 0x63
	v_mul_lo_u16_sdwa v1, v1, s4 dst_sel:DWORD dst_unused:UNUSED_PAD src0_sel:WORD_1 src1_sel:DWORD
	v_sub_u16_e32 v4, v0, v1
	v_cmp_gt_u16_e32 vcc, 54, v4
	v_lshlrev_b32_e32 v7, 2, v4
	s_and_saveexec_b64 s[8:9], vcc
	s_cbranch_execz .LBB0_3
; %bb.2:
	s_load_dwordx2 s[4:5], s[0:1], 0x18
	v_mov_b32_e32 v0, s10
	v_mov_b32_e32 v1, s11
	s_waitcnt lgkmcnt(0)
	s_load_dwordx4 s[4:7], s[4:5], 0x0
	s_waitcnt lgkmcnt(0)
	v_mad_u64_u32 v[2:3], s[10:11], s6, v6, 0
	v_mad_u64_u32 v[8:9], s[10:11], s4, v4, 0
	v_mov_b32_e32 v10, v3
	v_mov_b32_e32 v12, v9
	v_mad_u64_u32 v[10:11], s[6:7], s7, v6, v[10:11]
	v_mov_b32_e32 v3, v10
	v_mad_u64_u32 v[10:11], s[6:7], s5, v4, v[12:13]
	v_mov_b32_e32 v9, v10
	v_lshl_add_u64 v[0:1], v[2:3], 2, v[0:1]
	v_lshl_add_u64 v[0:1], v[8:9], 2, v[0:1]
	global_load_dword v2, v[0:1], off
	v_mov_b32_e32 v3, 0xd8
	global_load_dword v8, v7, s[12:13]
	v_mad_u64_u32 v[0:1], s[6:7], s4, v3, v[0:1]
	s_mul_i32 s10, s5, 0xd8
	v_add_u32_e32 v1, s10, v1
	global_load_dword v9, v[0:1], off
	global_load_dword v10, v7, s[12:13] offset:216
	v_mad_u64_u32 v[0:1], s[6:7], s4, v3, v[0:1]
	v_add_u32_e32 v1, s10, v1
	global_load_dword v11, v[0:1], off
	global_load_dword v12, v7, s[12:13] offset:432
	v_mad_u64_u32 v[0:1], s[6:7], s4, v3, v[0:1]
	v_add_u32_e32 v1, s10, v1
	global_load_dword v13, v[0:1], off
	global_load_dword v14, v7, s[12:13] offset:648
	v_mad_u64_u32 v[0:1], s[6:7], s4, v3, v[0:1]
	v_add_u32_e32 v1, s10, v1
	global_load_dword v15, v[0:1], off
	global_load_dword v16, v7, s[12:13] offset:864
	v_mad_u64_u32 v[0:1], s[6:7], s4, v3, v[0:1]
	v_add_u32_e32 v1, s10, v1
	global_load_dword v17, v[0:1], off
	global_load_dword v18, v7, s[12:13] offset:1080
	v_mad_u64_u32 v[0:1], s[6:7], s4, v3, v[0:1]
	v_add_u32_e32 v1, s10, v1
	global_load_dword v19, v[0:1], off
	global_load_dword v20, v7, s[12:13] offset:1296
	v_mad_u64_u32 v[0:1], s[6:7], s4, v3, v[0:1]
	v_add_u32_e32 v1, s10, v1
	global_load_dword v21, v[0:1], off
	global_load_dword v22, v7, s[12:13] offset:1512
	v_mad_u64_u32 v[0:1], s[6:7], s4, v3, v[0:1]
	v_add_u32_e32 v1, s10, v1
	global_load_dword v23, v[0:1], off
	global_load_dword v24, v7, s[12:13] offset:1728
	v_mad_u64_u32 v[0:1], s[6:7], s4, v3, v[0:1]
	v_add_u32_e32 v1, s10, v1
	global_load_dword v25, v[0:1], off
	global_load_dword v26, v7, s[12:13] offset:1944
	v_mad_u64_u32 v[0:1], s[4:5], s4, v3, v[0:1]
	v_add_u32_e32 v1, s10, v1
	global_load_dword v3, v[0:1], off
	global_load_dword v27, v7, s[12:13] offset:2160
	s_waitcnt vmcnt(21)
	v_lshrrev_b32_e32 v0, 16, v2
	s_waitcnt vmcnt(20)
	v_mul_f16_sdwa v1, v8, v2 dst_sel:DWORD dst_unused:UNUSED_PAD src0_sel:WORD_1 src1_sel:DWORD
	v_mul_f16_sdwa v28, v8, v0 dst_sel:DWORD dst_unused:UNUSED_PAD src0_sel:WORD_1 src1_sel:DWORD
	v_fma_f16 v0, v8, v0, -v1
	v_fma_f16 v1, v8, v2, v28
	s_waitcnt vmcnt(19)
	v_lshrrev_b32_e32 v2, 16, v9
	s_waitcnt vmcnt(18)
	v_mul_f16_sdwa v8, v10, v9 dst_sel:DWORD dst_unused:UNUSED_PAD src0_sel:WORD_1 src1_sel:DWORD
	v_pack_b32_f16 v0, v1, v0
	v_mul_f16_sdwa v1, v10, v2 dst_sel:DWORD dst_unused:UNUSED_PAD src0_sel:WORD_1 src1_sel:DWORD
	v_fma_f16 v2, v10, v2, -v8
	v_fma_f16 v1, v10, v9, v1
	s_waitcnt vmcnt(17)
	v_lshrrev_b32_e32 v8, 16, v11
	s_waitcnt vmcnt(16)
	v_mul_f16_sdwa v9, v12, v11 dst_sel:DWORD dst_unused:UNUSED_PAD src0_sel:WORD_1 src1_sel:DWORD
	v_pack_b32_f16 v1, v1, v2
	v_mul_f16_sdwa v2, v12, v8 dst_sel:DWORD dst_unused:UNUSED_PAD src0_sel:WORD_1 src1_sel:DWORD
	v_fma_f16 v8, v12, v8, -v9
	ds_write2_b32 v7, v0, v1 offset1:54
	v_fma_f16 v0, v12, v11, v2
	s_waitcnt vmcnt(15)
	v_lshrrev_b32_e32 v1, 16, v13
	s_waitcnt vmcnt(14)
	v_mul_f16_sdwa v2, v14, v13 dst_sel:DWORD dst_unused:UNUSED_PAD src0_sel:WORD_1 src1_sel:DWORD
	v_pack_b32_f16 v0, v0, v8
	v_mul_f16_sdwa v8, v14, v1 dst_sel:DWORD dst_unused:UNUSED_PAD src0_sel:WORD_1 src1_sel:DWORD
	v_fma_f16 v1, v14, v1, -v2
	v_fma_f16 v2, v14, v13, v8
	s_waitcnt vmcnt(13)
	v_lshrrev_b32_e32 v8, 16, v15
	s_waitcnt vmcnt(12)
	v_mul_f16_sdwa v9, v16, v15 dst_sel:DWORD dst_unused:UNUSED_PAD src0_sel:WORD_1 src1_sel:DWORD
	v_pack_b32_f16 v1, v2, v1
	v_mul_f16_sdwa v2, v16, v8 dst_sel:DWORD dst_unused:UNUSED_PAD src0_sel:WORD_1 src1_sel:DWORD
	v_fma_f16 v8, v16, v8, -v9
	ds_write2_b32 v7, v0, v1 offset0:108 offset1:162
	v_fma_f16 v0, v16, v15, v2
	s_waitcnt vmcnt(11)
	v_lshrrev_b32_e32 v1, 16, v17
	s_waitcnt vmcnt(10)
	v_mul_f16_sdwa v2, v18, v17 dst_sel:DWORD dst_unused:UNUSED_PAD src0_sel:WORD_1 src1_sel:DWORD
	v_pack_b32_f16 v0, v0, v8
	v_mul_f16_sdwa v8, v18, v1 dst_sel:DWORD dst_unused:UNUSED_PAD src0_sel:WORD_1 src1_sel:DWORD
	v_fma_f16 v1, v18, v1, -v2
	v_fma_f16 v2, v18, v17, v8
	v_pack_b32_f16 v1, v2, v1
	v_add_u32_e32 v2, 0x200, v7
	ds_write2_b32 v2, v0, v1 offset0:88 offset1:142
	s_waitcnt vmcnt(9)
	v_lshrrev_b32_e32 v0, 16, v19
	s_waitcnt vmcnt(8)
	v_mul_f16_sdwa v1, v20, v0 dst_sel:DWORD dst_unused:UNUSED_PAD src0_sel:WORD_1 src1_sel:DWORD
	v_mul_f16_sdwa v2, v20, v19 dst_sel:DWORD dst_unused:UNUSED_PAD src0_sel:WORD_1 src1_sel:DWORD
	v_fma_f16 v1, v20, v19, v1
	v_fma_f16 v0, v20, v0, -v2
	v_pack_b32_f16 v0, v1, v0
	s_waitcnt vmcnt(7)
	v_lshrrev_b32_e32 v1, 16, v21
	s_waitcnt vmcnt(6)
	v_mul_f16_sdwa v2, v22, v1 dst_sel:DWORD dst_unused:UNUSED_PAD src0_sel:WORD_1 src1_sel:DWORD
	v_mul_f16_sdwa v8, v22, v21 dst_sel:DWORD dst_unused:UNUSED_PAD src0_sel:WORD_1 src1_sel:DWORD
	v_fma_f16 v2, v22, v21, v2
	v_fma_f16 v1, v22, v1, -v8
	v_pack_b32_f16 v1, v2, v1
	v_add_u32_e32 v2, 0x400, v7
	ds_write2_b32 v2, v0, v1 offset0:68 offset1:122
	s_waitcnt vmcnt(5)
	v_lshrrev_b32_e32 v0, 16, v23
	s_waitcnt vmcnt(4)
	v_mul_f16_sdwa v1, v24, v0 dst_sel:DWORD dst_unused:UNUSED_PAD src0_sel:WORD_1 src1_sel:DWORD
	v_mul_f16_sdwa v8, v24, v23 dst_sel:DWORD dst_unused:UNUSED_PAD src0_sel:WORD_1 src1_sel:DWORD
	v_fma_f16 v1, v24, v23, v1
	v_fma_f16 v0, v24, v0, -v8
	v_pack_b32_f16 v0, v1, v0
	s_waitcnt vmcnt(3)
	v_lshrrev_b32_e32 v1, 16, v25
	s_waitcnt vmcnt(2)
	v_mul_f16_sdwa v8, v26, v1 dst_sel:DWORD dst_unused:UNUSED_PAD src0_sel:WORD_1 src1_sel:DWORD
	v_mul_f16_sdwa v9, v26, v25 dst_sel:DWORD dst_unused:UNUSED_PAD src0_sel:WORD_1 src1_sel:DWORD
	v_fma_f16 v8, v26, v25, v8
	v_fma_f16 v1, v26, v1, -v9
	v_pack_b32_f16 v1, v8, v1
	ds_write2_b32 v2, v0, v1 offset0:176 offset1:230
	s_waitcnt vmcnt(1)
	v_lshrrev_b32_e32 v0, 16, v3
	s_waitcnt vmcnt(0)
	v_mul_f16_sdwa v1, v27, v0 dst_sel:DWORD dst_unused:UNUSED_PAD src0_sel:WORD_1 src1_sel:DWORD
	v_mul_f16_sdwa v2, v27, v3 dst_sel:DWORD dst_unused:UNUSED_PAD src0_sel:WORD_1 src1_sel:DWORD
	v_fma_f16 v1, v27, v3, v1
	v_fma_f16 v0, v27, v0, -v2
	v_pack_b32_f16 v0, v1, v0
	ds_write_b32 v7, v0 offset:2160
.LBB0_3:
	s_or_b64 exec, exec, s[8:9]
	s_load_dwordx2 s[6:7], s[0:1], 0x20
	s_load_dwordx2 s[4:5], s[0:1], 0x8
	v_mov_b32_e32 v0, 0
	s_waitcnt lgkmcnt(0)
	s_barrier
	s_waitcnt lgkmcnt(0)
                                        ; implicit-def: $vgpr12
                                        ; implicit-def: $vgpr22
                                        ; implicit-def: $vgpr23
                                        ; implicit-def: $vgpr16
                                        ; implicit-def: $vgpr25
                                        ; implicit-def: $vgpr33
                                        ; implicit-def: $vgpr35
                                        ; implicit-def: $vgpr34
                                        ; implicit-def: $vgpr15
                                        ; implicit-def: $vgpr24
                                        ; implicit-def: $vgpr21
                                        ; implicit-def: $vgpr3
                                        ; implicit-def: $vgpr18
                                        ; implicit-def: $vgpr19
                                        ; implicit-def: $vgpr20
	s_and_saveexec_b64 s[0:1], vcc
	s_cbranch_execz .LBB0_5
; %bb.4:
	v_add_u32_e32 v8, 0x200, v7
	ds_read2_b32 v[0:1], v7 offset1:54
	ds_read2_b32 v[2:3], v7 offset0:108 offset1:162
	ds_read2_b32 v[14:15], v8 offset0:88 offset1:142
	v_add_u32_e32 v8, 0x400, v7
	ds_read2_b32 v[12:13], v8 offset0:68 offset1:122
	ds_read2_b32 v[16:17], v8 offset0:176 offset1:230
	ds_read_b32 v35, v7 offset:2160
	s_waitcnt lgkmcnt(5)
	v_lshrrev_b32_e32 v20, 16, v1
	s_waitcnt lgkmcnt(4)
	v_lshrrev_b32_e32 v19, 16, v2
	v_lshrrev_b32_e32 v18, 16, v3
	s_waitcnt lgkmcnt(3)
	v_lshrrev_b32_e32 v21, 16, v14
	;; [unrolled: 3-line block ×5, first 2 shown]
.LBB0_5:
	s_or_b64 exec, exec, s[0:1]
	v_sub_f16_e32 v8, v20, v34
	v_add_f16_e32 v50, v35, v1
	s_movk_i32 s1, 0x36a6
	v_mul_f16_e32 v37, 0xbb47, v8
	v_sub_f16_e32 v26, v19, v33
	v_fma_f16 v9, v50, s1, v37
	s_mov_b32 s8, 0xb08e
	v_mul_f16_e32 v38, 0xbbeb, v8
	s_mov_b32 s9, 0xb93d
	v_add_f16_e32 v58, v17, v2
	v_mul_f16_e32 v39, 0xba0c, v26
	v_add_f16_e32 v9, v9, v0
	v_fma_f16 v10, v50, s8, v38
	v_mul_f16_e32 v40, 0xba0c, v8
	s_mov_b32 s10, 0xbbad
	v_fma_f16 v27, v58, s9, v39
	v_mul_f16_e32 v41, 0x3482, v26
	v_add_f16_e32 v10, v10, v0
	v_fma_f16 v11, v50, s9, v40
	v_mul_f16_e32 v44, 0xb482, v8
	v_add_f16_e32 v9, v27, v9
	v_fma_f16 v27, v58, s10, v41
	v_mul_f16_e32 v43, 0x3beb, v26
	s_movk_i32 s0, 0x3abb
	v_mul_f16_e32 v36, 0xb853, v8
	v_add_f16_e32 v11, v11, v0
	v_fma_f16 v8, v50, s10, v44
	v_add_f16_e32 v10, v27, v10
	v_fma_f16 v27, v58, s8, v43
	v_mul_f16_e32 v48, 0x3853, v26
	v_add_f16_e32 v8, v8, v0
	v_add_f16_e32 v11, v27, v11
	v_fma_f16 v27, v58, s0, v48
	v_add_f16_e32 v8, v27, v8
	v_sub_f16_e32 v27, v18, v25
	v_add_f16_e32 v64, v16, v3
	v_mul_f16_e32 v42, 0x3482, v27
	v_fma_f16 v28, v64, s10, v42
	v_mul_f16_e32 v45, 0x3b47, v27
	v_add_f16_e32 v9, v28, v9
	v_fma_f16 v28, v64, s1, v45
	v_mul_f16_e32 v47, 0xb853, v27
	v_add_f16_e32 v10, v28, v10
	;; [unrolled: 3-line block ×3, first 2 shown]
	v_fma_f16 v28, v64, s9, v54
	v_add_f16_e32 v8, v28, v8
	v_sub_f16_e32 v28, v21, v23
	v_add_f16_e32 v60, v13, v14
	v_mul_f16_e32 v46, 0x3beb, v28
	v_fma_f16 v29, v60, s8, v46
	v_mul_f16_e32 v49, 0xb853, v28
	v_add_f16_e32 v9, v29, v9
	v_fma_f16 v29, v60, s0, v49
	v_mul_f16_e32 v55, 0xb482, v28
	v_add_f16_e32 v10, v29, v10
	v_fma_f16 v29, v60, s10, v55
	v_mul_f16_e32 v62, 0x3b47, v28
	v_sub_f16_e32 v30, v24, v22
	v_add_f16_e32 v11, v29, v11
	v_fma_f16 v29, v60, s1, v62
	v_add_f16_e32 v65, v12, v15
	v_mul_f16_e32 v52, 0x3853, v30
	v_add_f16_e32 v29, v29, v8
	v_fma_f16 v8, v65, s0, v52
	v_mul_f16_e32 v57, 0xba0c, v30
	v_add_f16_e32 v9, v8, v9
	v_fma_f16 v8, v65, s9, v57
	;; [unrolled: 3-line block ×4, first 2 shown]
	v_add_f16_e32 v10, v10, v29
	v_fma_f16 v29, v50, s0, v36
	v_mul_f16_e32 v53, 0xbb47, v26
	v_add_f16_e32 v29, v29, v0
	v_fma_f16 v26, v58, s1, v53
	v_add_f16_e32 v26, v26, v29
	v_sub_f16_e32 v29, v1, v35
	v_add_f16_e32 v51, v34, v20
	v_mul_f16_e32 v56, 0xb853, v29
	v_sub_f16_e32 v32, v2, v17
	v_fma_f16 v31, v51, s0, -v56
	v_add_f16_e32 v91, v33, v19
	v_mul_f16_e32 v59, 0xbb47, v32
	v_add_f16_sdwa v31, v31, v0 dst_sel:DWORD dst_unused:UNUSED_PAD src0_sel:DWORD src1_sel:WORD_1
	v_fma_f16 v61, v91, s1, -v59
	v_mul_f16_e32 v66, 0xbb47, v29
	v_add_f16_e32 v31, v61, v31
	v_fma_f16 v61, v51, s1, -v66
	v_mul_f16_e32 v67, 0xba0c, v32
	v_add_f16_sdwa v61, v61, v0 dst_sel:DWORD dst_unused:UNUSED_PAD src0_sel:DWORD src1_sel:WORD_1
	v_fma_f16 v68, v91, s9, -v67
	v_mul_f16_e32 v72, 0xbbeb, v29
	v_add_f16_e32 v69, v68, v61
	v_fma_f16 v61, v51, s8, -v72
	;; [unrolled: 6-line block ×3, first 2 shown]
	v_mul_f16_e32 v80, 0x3beb, v32
	v_add_f16_sdwa v61, v61, v0 dst_sel:DWORD dst_unused:UNUSED_PAD src0_sel:DWORD src1_sel:WORD_1
	v_fma_f16 v68, v91, s8, -v80
	v_add_f16_e32 v73, v68, v61
	v_mul_f16_e32 v61, 0xbbeb, v27
	v_mul_f16_e32 v87, 0xb482, v29
	v_fma_f16 v27, v64, s8, v61
	v_fma_f16 v29, v51, s10, -v87
	v_mul_f16_e32 v86, 0x3853, v32
	v_add_f16_e32 v26, v27, v26
	v_sub_f16_e32 v27, v3, v16
	v_add_f16_sdwa v29, v29, v0 dst_sel:DWORD dst_unused:UNUSED_PAD src0_sel:DWORD src1_sel:WORD_1
	v_fma_f16 v32, v91, s0, -v86
	v_add_f16_e32 v94, v25, v18
	v_mul_f16_e32 v68, 0xbbeb, v27
	v_add_f16_e32 v29, v32, v29
	v_fma_f16 v32, v94, s8, -v68
	v_mul_f16_e32 v75, 0x3482, v27
	v_add_f16_e32 v31, v32, v31
	v_fma_f16 v32, v94, s10, -v75
	;; [unrolled: 3-line block ×4, first 2 shown]
	v_add_f16_e32 v73, v69, v73
	v_mul_f16_e32 v69, 0xba0c, v28
	v_fma_f16 v28, v60, s9, v69
	v_mul_f16_e32 v92, 0xba0c, v27
	v_add_f16_e32 v26, v28, v26
	v_sub_f16_e32 v28, v14, v13
	v_fma_f16 v27, v94, s9, -v92
	v_add_f16_e32 v90, v23, v21
	v_mul_f16_e32 v70, 0xba0c, v28
	v_add_f16_e32 v27, v27, v29
	v_fma_f16 v29, v90, s9, -v70
	v_mul_f16_e32 v77, 0x3beb, v28
	v_add_f16_e32 v29, v29, v31
	v_fma_f16 v31, v90, s8, -v77
	;; [unrolled: 3-line block ×5, first 2 shown]
	v_mul_f16_e32 v73, 0xb482, v30
	v_add_f16_e32 v96, v28, v27
	v_fma_f16 v27, v65, s10, v73
	v_add_f16_e32 v27, v27, v26
	v_sub_f16_e32 v26, v15, v12
	v_add_f16_e32 v89, v22, v24
	v_mul_f16_e32 v76, 0xb482, v26
	v_fma_f16 v28, v89, s10, -v76
	v_mul_f16_e32 v81, 0x3853, v26
	v_add_f16_e32 v28, v28, v29
	v_fma_f16 v29, v89, s0, -v81
	v_mul_f16_e32 v88, 0x3b47, v26
	v_add_f16_e32 v29, v29, v31
	;; [unrolled: 3-line block ×3, first 2 shown]
	v_mul_f16_e32 v95, 0xbbeb, v26
	v_fma_f16 v30, v89, s9, -v84
	v_fma_f16 v26, v89, s8, -v95
	v_add_f16_e32 v30, v30, v32
	v_add_f16_e32 v32, v26, v96
	v_mul_lo_u16_e32 v26, 11, v4
	s_barrier
	s_and_saveexec_b64 s[0:1], vcc
	s_cbranch_execz .LBB0_7
; %bb.6:
	v_mul_f16_e32 v97, 0x3abb, v51
	v_mul_f16_e32 v99, 0x36a6, v51
	;; [unrolled: 1-line block ×10, first 2 shown]
	v_add_f16_e32 v51, v87, v51
	v_mul_f16_e32 v113, 0xb08e, v94
	v_mul_f16_e32 v115, 0xbbad, v94
	;; [unrolled: 1-line block ×5, first 2 shown]
	v_add_f16_e32 v86, v86, v91
	v_add_f16_sdwa v51, v51, v0 dst_sel:DWORD dst_unused:UNUSED_PAD src0_sel:DWORD src1_sel:WORD_1
	v_add_f16_e32 v51, v86, v51
	v_add_f16_e32 v92, v92, v94
	v_mul_f16_e32 v96, 0x3abb, v50
	v_mul_f16_e32 v98, 0x36a6, v50
	;; [unrolled: 1-line block ×5, first 2 shown]
	v_add_f16_e32 v51, v92, v51
	v_mul_f16_e32 v92, 0x36a6, v90
	v_mul_f16_e32 v104, 0x36a6, v58
	;; [unrolled: 1-line block ×6, first 2 shown]
	v_add_f16_e32 v92, v93, v92
	v_sub_f16_e32 v44, v50, v44
	v_sub_f16_e32 v40, v102, v40
	;; [unrolled: 1-line block ×4, first 2 shown]
	v_mul_f16_e32 v112, 0xb08e, v64
	v_mul_f16_e32 v114, 0xbbad, v64
	;; [unrolled: 1-line block ×5, first 2 shown]
	v_add_f16_e32 v51, v92, v51
	v_mul_f16_e32 v92, 0xb08e, v89
	v_sub_f16_e32 v48, v58, v48
	v_add_f16_e32 v44, v44, v0
	v_add_f16_e32 v40, v40, v0
	v_sub_f16_e32 v43, v110, v43
	v_add_f16_e32 v38, v38, v0
	v_sub_f16_e32 v41, v108, v41
	;; [unrolled: 2-line block ×3, first 2 shown]
	v_mul_f16_e32 v120, 0xb93d, v60
	v_mul_f16_e32 v91, 0xb08e, v60
	;; [unrolled: 1-line block ×3, first 2 shown]
	v_add_f16_e32 v92, v95, v92
	v_mul_f16_e32 v95, 0xbbad, v60
	v_mul_f16_e32 v60, 0x36a6, v60
	v_add_f16_e32 v44, v48, v44
	v_sub_f16_e32 v54, v64, v54
	v_add_f16_e32 v40, v43, v40
	v_sub_f16_e32 v43, v118, v47
	;; [unrolled: 2-line block ×4, first 2 shown]
	v_add_f16_e32 v51, v92, v51
	v_mul_f16_e32 v92, 0xbbad, v65
	v_mul_f16_e32 v58, 0x3abb, v65
	;; [unrolled: 1-line block ×3, first 2 shown]
	v_add_f16_e32 v44, v54, v44
	v_sub_f16_e32 v60, v60, v62
	v_mul_f16_e32 v62, 0x36a6, v65
	v_mul_f16_e32 v65, 0xb08e, v65
	v_add_f16_e32 v40, v43, v40
	v_sub_f16_e32 v43, v95, v55
	v_add_f16_e32 v38, v41, v38
	v_sub_f16_e32 v41, v94, v49
	;; [unrolled: 2-line block ×7, first 2 shown]
	v_add_f16_e32 v44, v60, v44
	v_add_f16_e32 v60, v79, v103
	;; [unrolled: 1-line block ×8, first 2 shown]
	v_sub_f16_e32 v36, v96, v36
	v_add_f16_sdwa v60, v60, v0 dst_sel:DWORD dst_unused:UNUSED_PAD src0_sel:DWORD src1_sel:WORD_1
	v_add_f16_sdwa v43, v43, v0 dst_sel:DWORD dst_unused:UNUSED_PAD src0_sel:DWORD src1_sel:WORD_1
	;; [unrolled: 1-line block ×4, first 2 shown]
	v_add_f16_e32 v36, v36, v0
	v_add_f16_e32 v1, v1, v0
	v_add_f16_sdwa v0, v20, v0 dst_sel:DWORD dst_unused:UNUSED_PAD src0_sel:DWORD src1_sel:WORD_1
	v_add_f16_e32 v42, v59, v105
	v_add_f16_e32 v1, v2, v1
	;; [unrolled: 1-line block ×3, first 2 shown]
	v_mul_f16_e32 v87, 0xb93d, v90
	v_add_f16_e32 v39, v42, v39
	v_add_f16_e32 v42, v68, v113
	;; [unrolled: 1-line block ×4, first 2 shown]
	v_mul_f16_e32 v50, 0xbbad, v89
	v_add_f16_e32 v39, v42, v39
	v_add_f16_e32 v42, v70, v87
	;; [unrolled: 1-line block ×9, first 2 shown]
	v_sub_f16_e32 v42, v104, v53
	v_add_f16_e32 v1, v12, v1
	v_add_f16_e32 v0, v22, v0
	;; [unrolled: 1-line block ×5, first 2 shown]
	v_sub_f16_e32 v42, v112, v61
	v_add_f16_e32 v1, v13, v1
	v_add_f16_e32 v0, v23, v0
	v_mul_f16_e32 v86, 0xb08e, v90
	v_mul_f16_e32 v93, 0x3abb, v90
	v_add_f16_e32 v65, v80, v111
	v_add_f16_e32 v43, v47, v43
	;; [unrolled: 1-line block ×6, first 2 shown]
	v_sub_f16_e32 v42, v120, v69
	v_add_f16_e32 v1, v16, v1
	v_add_f16_e32 v0, v25, v0
	v_mul_f16_e32 v90, 0xbbad, v90
	v_mul_f16_e32 v48, 0x3abb, v89
	;; [unrolled: 1-line block ×3, first 2 shown]
	v_add_f16_e32 v60, v65, v60
	v_add_f16_e32 v65, v83, v119
	;; [unrolled: 1-line block ×7, first 2 shown]
	v_sub_f16_e32 v42, v92, v73
	v_add_f16_e32 v1, v17, v1
	v_add_f16_e32 v0, v33, v0
	v_mul_f16_e32 v89, 0x36a6, v89
	v_add_f16_e32 v60, v65, v60
	v_add_f16_e32 v65, v85, v90
	;; [unrolled: 1-line block ×13, first 2 shown]
	v_lshlrev_b32_e32 v2, 2, v26
	v_pack_b32_f16 v3, v36, v39
	v_pack_b32_f16 v0, v1, v0
	v_add_f16_e32 v60, v65, v60
	ds_write2_b32 v2, v0, v3 offset1:1
	v_pack_b32_f16 v0, v38, v43
	v_pack_b32_f16 v1, v37, v41
	ds_write2_b32 v2, v1, v0 offset0:2 offset1:3
	v_pack_b32_f16 v0, v44, v51
	v_pack_b32_f16 v1, v40, v60
	s_mov_b32 s8, 0x5040100
	ds_write2_b32 v2, v1, v0 offset0:4 offset1:5
	v_perm_b32 v0, v31, v11, s8
	v_perm_b32 v1, v32, v10, s8
	ds_write2_b32 v2, v1, v0 offset0:6 offset1:7
	v_perm_b32 v0, v29, v9, s8
	v_perm_b32 v1, v30, v8, s8
	ds_write2_b32 v2, v1, v0 offset0:8 offset1:9
	v_perm_b32 v0, v28, v27, s8
	ds_write_b32 v2, v0 offset:40
.LBB0_7:
	s_or_b64 exec, exec, s[0:1]
	s_mov_b64 s[0:1], 0x63
	v_lshl_add_u64 v[18:19], v[4:5], 0, s[0:1]
	s_movk_i32 s0, 0x75
	v_mul_lo_u16_sdwa v0, v4, s0 dst_sel:DWORD dst_unused:UNUSED_PAD src0_sel:BYTE_0 src1_sel:DWORD
	v_sub_u16_sdwa v1, v4, v0 dst_sel:DWORD dst_unused:UNUSED_PAD src0_sel:DWORD src1_sel:BYTE_1
	v_lshrrev_b16_e32 v1, 1, v1
	v_and_b32_e32 v1, 0x7f, v1
	v_add_u16_sdwa v0, v1, v0 dst_sel:DWORD dst_unused:UNUSED_PAD src0_sel:DWORD src1_sel:BYTE_1
	v_lshrrev_b16_e32 v19, 3, v0
	v_mul_lo_u16_e32 v0, 11, v19
	v_sub_u16_e32 v0, v4, v0
	v_mul_lo_u16_sdwa v1, v18, s0 dst_sel:DWORD dst_unused:UNUSED_PAD src0_sel:BYTE_0 src1_sel:DWORD
	v_and_b32_e32 v20, 0xff, v0
	v_sub_u16_sdwa v2, v18, v1 dst_sel:DWORD dst_unused:UNUSED_PAD src0_sel:DWORD src1_sel:BYTE_1
	v_lshlrev_b32_e32 v0, 3, v20
	v_lshrrev_b16_e32 v2, 1, v2
	s_load_dwordx4 s[8:11], s[6:7], 0x0
	s_waitcnt lgkmcnt(0)
	s_barrier
	global_load_dwordx2 v[12:13], v0, s[4:5]
	v_and_b32_e32 v0, 0x7f, v2
	v_add_u16_sdwa v0, v0, v1 dst_sel:DWORD dst_unused:UNUSED_PAD src0_sel:DWORD src1_sel:BYTE_1
	v_lshrrev_b16_e32 v21, 3, v0
	v_mul_lo_u16_e32 v0, 11, v21
	v_sub_u16_e32 v0, v18, v0
	v_and_b32_e32 v22, 0xff, v0
	v_lshlrev_b32_e32 v0, 3, v22
	global_load_dwordx2 v[14:15], v0, s[4:5]
	v_mov_b32_e32 v0, 2
	v_lshlrev_b32_sdwa v5, v0, v4 dst_sel:DWORD dst_unused:UNUSED_PAD src0_sel:DWORD src1_sel:WORD_0
	v_add_u32_e32 v43, 0x200, v5
	ds_read2_b32 v[0:1], v5 offset1:99
	v_add_u32_e32 v44, 0x400, v5
	ds_read2_b32 v[2:3], v43 offset0:70 offset1:169
	ds_read2_b32 v[16:17], v44 offset0:140 offset1:239
	v_mul_u32_u24_e32 v19, 33, v19
	v_add_lshl_u32 v33, v19, v20, 2
	s_waitcnt lgkmcnt(2)
	v_lshrrev_b32_e32 v23, 16, v0
	s_waitcnt lgkmcnt(1)
	v_lshrrev_b32_e32 v25, 16, v2
	;; [unrolled: 2-line block ×3, first 2 shown]
	v_lshrrev_b32_e32 v35, 16, v3
	v_lshrrev_b32_e32 v36, 16, v17
	;; [unrolled: 1-line block ×3, first 2 shown]
	s_movk_i32 s0, 0x3aee
	s_mov_b32 s1, 0xbaee
	s_barrier
	s_movk_i32 s6, 0xf9
	v_lshlrev_b32_e32 v18, 3, v18
	s_waitcnt vmcnt(1)
	v_mul_f16_sdwa v19, v25, v12 dst_sel:DWORD dst_unused:UNUSED_PAD src0_sel:DWORD src1_sel:WORD_1
	v_mul_f16_sdwa v20, v2, v12 dst_sel:DWORD dst_unused:UNUSED_PAD src0_sel:DWORD src1_sel:WORD_1
	;; [unrolled: 1-line block ×4, first 2 shown]
	v_fma_f16 v2, v2, v12, -v19
	v_fma_f16 v19, v25, v12, v20
	v_fma_f16 v16, v16, v13, -v37
	v_fma_f16 v20, v34, v13, v38
	s_waitcnt vmcnt(0)
	v_mul_f16_sdwa v25, v35, v14 dst_sel:DWORD dst_unused:UNUSED_PAD src0_sel:DWORD src1_sel:WORD_1
	v_mul_f16_sdwa v34, v3, v14 dst_sel:DWORD dst_unused:UNUSED_PAD src0_sel:DWORD src1_sel:WORD_1
	;; [unrolled: 1-line block ×4, first 2 shown]
	v_fma_f16 v3, v3, v14, -v25
	v_fma_f16 v25, v35, v14, v34
	v_fma_f16 v17, v17, v15, -v37
	v_fma_f16 v34, v36, v15, v38
	v_add_f16_e32 v36, v2, v16
	v_sub_f16_e32 v37, v19, v20
	v_add_f16_e32 v38, v23, v19
	v_add_f16_e32 v19, v19, v20
	;; [unrolled: 1-line block ×3, first 2 shown]
	v_sub_f16_e32 v2, v2, v16
	v_fma_f16 v0, v36, -0.5, v0
	v_add_f16_e32 v20, v38, v20
	v_fma_f16 v19, v19, -0.5, v23
	v_add_f16_e32 v23, v1, v3
	v_sub_f16_e32 v36, v25, v34
	v_add_f16_e32 v38, v24, v25
	v_add_f16_e32 v25, v25, v34
	v_add_f16_e32 v16, v35, v16
	v_add_f16_e32 v35, v3, v17
	v_sub_f16_e32 v3, v3, v17
	v_fma_f16 v39, v37, s0, v0
	v_fma_f16 v0, v37, s1, v0
	v_fma_f16 v37, v2, s1, v19
	v_fma_f16 v2, v2, s0, v19
	v_add_f16_e32 v17, v23, v17
	v_fma_f16 v23, v25, -0.5, v24
	v_fma_f16 v1, v35, -0.5, v1
	v_pack_b32_f16 v16, v16, v20
	v_fma_f16 v24, v3, s1, v23
	v_fma_f16 v3, v3, s0, v23
	v_pack_b32_f16 v23, v39, v37
	v_pack_b32_f16 v0, v0, v2
	v_add_f16_e32 v19, v38, v34
	v_fma_f16 v20, v36, s0, v1
	ds_write2_b32 v33, v16, v23 offset1:11
	ds_write_b32 v33, v0 offset:88
	v_mul_u32_u24_e32 v0, 33, v21
	v_fma_f16 v1, v36, s1, v1
	v_add_lshl_u32 v34, v0, v22, 2
	v_pack_b32_f16 v0, v17, v19
	v_pack_b32_f16 v2, v20, v24
	ds_write2_b32 v34, v0, v2 offset1:11
	v_pack_b32_f16 v0, v1, v3
	ds_write_b32 v34, v0 offset:88
	v_mul_lo_u16_sdwa v0, v4, s6 dst_sel:DWORD dst_unused:UNUSED_PAD src0_sel:BYTE_0 src1_sel:DWORD
	v_lshrrev_b16_e32 v19, 13, v0
	v_mul_lo_u16_e32 v0, 33, v19
	v_sub_u16_e32 v0, v4, v0
	v_and_b32_e32 v24, 0xff, v0
	v_mad_u64_u32 v[16:17], s[6:7], v24, 20, s[4:5]
	s_waitcnt lgkmcnt(0)
	s_barrier
	global_load_dwordx4 v[0:3], v[16:17], off offset:88
	global_load_dword v35, v[16:17], off offset:104
	ds_read2_b32 v[16:17], v5 offset1:99
	ds_read2_b32 v[20:21], v43 offset0:70 offset1:169
	ds_read2_b32 v[22:23], v44 offset0:140 offset1:239
	v_mul_u32_u24_e32 v19, 0xc6, v19
	s_waitcnt lgkmcnt(0)
	v_lshrrev_b32_e32 v36, 16, v17
	v_lshrrev_b32_e32 v38, 16, v21
	;; [unrolled: 1-line block ×6, first 2 shown]
	s_barrier
	s_waitcnt vmcnt(1)
	v_mul_f16_sdwa v42, v17, v0 dst_sel:DWORD dst_unused:UNUSED_PAD src0_sel:DWORD src1_sel:WORD_1
	v_mul_f16_sdwa v46, v20, v1 dst_sel:DWORD dst_unused:UNUSED_PAD src0_sel:DWORD src1_sel:WORD_1
	;; [unrolled: 1-line block ×5, first 2 shown]
	s_waitcnt vmcnt(0)
	v_mul_f16_sdwa v51, v40, v35 dst_sel:DWORD dst_unused:UNUSED_PAD src0_sel:DWORD src1_sel:WORD_1
	v_mul_f16_sdwa v52, v23, v35 dst_sel:DWORD dst_unused:UNUSED_PAD src0_sel:DWORD src1_sel:WORD_1
	;; [unrolled: 1-line block ×5, first 2 shown]
	v_fma_f16 v36, v36, v0, v42
	v_fma_f16 v37, v37, v1, v46
	v_fma_f16 v21, v21, v2, -v47
	v_fma_f16 v38, v38, v2, v48
	v_fma_f16 v39, v39, v3, v50
	v_fma_f16 v23, v23, v35, -v51
	v_fma_f16 v40, v40, v35, v52
	v_fma_f16 v17, v17, v0, -v41
	v_fma_f16 v20, v20, v1, -v45
	;; [unrolled: 1-line block ×3, first 2 shown]
	v_sub_f16_e32 v45, v37, v39
	v_add_f16_e32 v46, v25, v37
	v_add_f16_e32 v37, v37, v39
	;; [unrolled: 1-line block ×3, first 2 shown]
	v_sub_f16_e32 v49, v38, v40
	v_add_f16_e32 v50, v36, v38
	v_add_f16_e32 v38, v38, v40
	;; [unrolled: 1-line block ×4, first 2 shown]
	v_sub_f16_e32 v20, v20, v22
	v_add_f16_e32 v47, v17, v21
	v_sub_f16_e32 v21, v21, v23
	v_fma_f16 v25, v37, -0.5, v25
	v_fma_f16 v17, v48, -0.5, v17
	;; [unrolled: 1-line block ×3, first 2 shown]
	v_add_f16_e32 v22, v41, v22
	v_add_f16_e32 v37, v50, v40
	v_fma_f16 v40, v20, s1, v25
	v_fma_f16 v20, v20, s0, v25
	;; [unrolled: 1-line block ×5, first 2 shown]
	v_fma_f16 v16, v42, -0.5, v16
	v_add_f16_e32 v39, v46, v39
	v_add_f16_e32 v23, v47, v23
	v_fma_f16 v21, v21, s0, v36
	v_mul_f16_e32 v36, 0x3aee, v41
	v_mul_f16_e32 v46, -0.5, v17
	v_mul_f16_e32 v47, 0xbaee, v25
	v_fma_f16 v38, v45, s0, v16
	v_fma_f16 v25, v25, 0.5, v36
	v_fma_f16 v36, v21, s0, v46
	v_fma_f16 v41, v41, 0.5, v47
	v_mul_f16_e32 v21, -0.5, v21
	v_fma_f16 v16, v45, s1, v16
	v_add_f16_e32 v42, v22, v23
	v_add_f16_e32 v45, v39, v37
	;; [unrolled: 1-line block ×4, first 2 shown]
	v_fma_f16 v17, v17, s1, v21
	v_add_f16_e32 v47, v16, v36
	v_add_f16_e32 v21, v20, v17
	v_sub_f16_e32 v22, v22, v23
	v_sub_f16_e32 v23, v38, v25
	;; [unrolled: 1-line block ×5, first 2 shown]
	v_add_lshl_u32 v36, v19, v24, 2
	v_pack_b32_f16 v19, v42, v45
	v_pack_b32_f16 v20, v46, v48
	v_sub_f16_e32 v37, v40, v41
	ds_write2_b32 v36, v19, v20 offset1:33
	v_pack_b32_f16 v19, v47, v21
	v_pack_b32_f16 v20, v22, v25
	ds_write2_b32 v36, v19, v20 offset0:66 offset1:99
	v_pack_b32_f16 v19, v23, v37
	v_pack_b32_f16 v16, v16, v17
	ds_write2_b32 v36, v19, v16 offset0:132 offset1:165
	v_lshlrev_b32_e32 v16, 3, v4
	s_waitcnt lgkmcnt(0)
	s_barrier
	global_load_dwordx2 v[16:17], v16, s[4:5] offset:748
	s_nop 0
	global_load_dwordx2 v[18:19], v18, s[4:5] offset:748
	ds_read2_b32 v[24:25], v5 offset1:99
	ds_read2_b32 v[20:21], v43 offset0:70 offset1:169
	ds_read2_b32 v[22:23], v44 offset0:140 offset1:239
	s_waitcnt lgkmcnt(2)
	v_lshrrev_b32_e32 v38, 16, v24
	s_waitcnt lgkmcnt(1)
	v_lshrrev_b32_e32 v37, 16, v20
	;; [unrolled: 2-line block ×3, first 2 shown]
	v_lshrrev_b32_e32 v41, 16, v21
	v_lshrrev_b32_e32 v42, 16, v23
	;; [unrolled: 1-line block ×3, first 2 shown]
	s_waitcnt vmcnt(1)
	v_mul_f16_sdwa v45, v37, v16 dst_sel:DWORD dst_unused:UNUSED_PAD src0_sel:DWORD src1_sel:WORD_1
	v_mul_f16_sdwa v46, v20, v16 dst_sel:DWORD dst_unused:UNUSED_PAD src0_sel:DWORD src1_sel:WORD_1
	;; [unrolled: 1-line block ×4, first 2 shown]
	s_waitcnt vmcnt(0)
	v_mul_f16_sdwa v49, v41, v18 dst_sel:DWORD dst_unused:UNUSED_PAD src0_sel:DWORD src1_sel:WORD_1
	v_mul_f16_sdwa v50, v21, v18 dst_sel:DWORD dst_unused:UNUSED_PAD src0_sel:DWORD src1_sel:WORD_1
	;; [unrolled: 1-line block ×4, first 2 shown]
	v_fma_f16 v20, v20, v16, -v45
	v_fma_f16 v37, v37, v16, v46
	v_fma_f16 v22, v22, v17, -v47
	v_fma_f16 v39, v39, v17, v48
	;; [unrolled: 2-line block ×4, first 2 shown]
	v_add_f16_e32 v45, v24, v20
	v_add_f16_e32 v46, v20, v22
	;; [unrolled: 1-line block ×6, first 2 shown]
	v_sub_f16_e32 v53, v41, v42
	v_add_f16_e32 v54, v40, v41
	v_add_f16_e32 v41, v41, v42
	v_sub_f16_e32 v47, v37, v39
	v_sub_f16_e32 v50, v20, v22
	;; [unrolled: 1-line block ×3, first 2 shown]
	v_add_f16_e32 v20, v45, v22
	v_fma_f16 v22, v46, -0.5, v24
	v_add_f16_e32 v37, v48, v39
	v_fma_f16 v24, v49, -0.5, v38
	;; [unrolled: 2-line block ×4, first 2 shown]
	v_fma_f16 v21, v47, s0, v22
	v_fma_f16 v39, v50, s1, v24
	;; [unrolled: 1-line block ×5, first 2 shown]
	v_pack_b32_f16 v45, v20, v37
	v_pack_b32_f16 v48, v23, v38
	v_fma_f16 v22, v47, s1, v22
	v_fma_f16 v25, v53, s1, v25
	;; [unrolled: 1-line block ×3, first 2 shown]
	v_pack_b32_f16 v46, v21, v39
	ds_write2_b32 v5, v45, v48 offset1:99
	v_pack_b32_f16 v45, v24, v41
	v_pack_b32_f16 v47, v22, v40
	ds_write2_b32 v43, v46, v45 offset0:70 offset1:169
	v_pack_b32_f16 v43, v25, v42
	ds_write2_b32 v44, v47, v43 offset0:140 offset1:239
	s_waitcnt lgkmcnt(0)
	s_barrier
	s_and_saveexec_b64 s[0:1], vcc
	s_cbranch_execz .LBB0_9
; %bb.8:
	global_load_dword v43, v7, s[12:13] offset:2376
	s_add_u32 s4, s12, 0x948
	s_addc_u32 s5, s13, 0
	global_load_dword v54, v7, s[4:5] offset:216
	global_load_dword v55, v7, s[4:5] offset:432
	;; [unrolled: 1-line block ×10, first 2 shown]
	ds_read_b32 v44, v5
	v_add_u32_e32 v64, 0x400, v7
	v_add_u32_e32 v65, 0x600, v7
	s_waitcnt lgkmcnt(0)
	v_lshrrev_b32_e32 v45, 16, v44
	s_waitcnt vmcnt(10)
	v_mul_f16_sdwa v46, v45, v43 dst_sel:DWORD dst_unused:UNUSED_PAD src0_sel:DWORD src1_sel:WORD_1
	v_mul_f16_sdwa v47, v44, v43 dst_sel:DWORD dst_unused:UNUSED_PAD src0_sel:DWORD src1_sel:WORD_1
	v_fma_f16 v44, v44, v43, -v46
	v_fma_f16 v43, v45, v43, v47
	v_pack_b32_f16 v43, v44, v43
	ds_write_b32 v5, v43
	ds_read2_b32 v[44:45], v7 offset0:54 offset1:108
	ds_read2_b32 v[46:47], v7 offset0:162 offset1:216
	ds_read2_b32 v[48:49], v64 offset0:14 offset1:68
	ds_read2_b32 v[50:51], v64 offset0:122 offset1:176
	ds_read2_b32 v[52:53], v65 offset0:102 offset1:156
	s_waitcnt lgkmcnt(4)
	v_lshrrev_b32_e32 v43, 16, v44
	s_waitcnt vmcnt(9)
	v_mul_f16_sdwa v66, v44, v54 dst_sel:DWORD dst_unused:UNUSED_PAD src0_sel:DWORD src1_sel:WORD_1
	v_lshrrev_b32_e32 v67, 16, v45
	s_waitcnt vmcnt(8)
	v_mul_f16_sdwa v68, v45, v55 dst_sel:DWORD dst_unused:UNUSED_PAD src0_sel:DWORD src1_sel:WORD_1
	s_waitcnt lgkmcnt(3)
	v_lshrrev_b32_e32 v69, 16, v46
	s_waitcnt vmcnt(7)
	v_mul_f16_sdwa v70, v46, v56 dst_sel:DWORD dst_unused:UNUSED_PAD src0_sel:DWORD src1_sel:WORD_1
	v_lshrrev_b32_e32 v71, 16, v47
	s_waitcnt vmcnt(6)
	v_mul_f16_sdwa v72, v47, v57 dst_sel:DWORD dst_unused:UNUSED_PAD src0_sel:DWORD src1_sel:WORD_1
	;; [unrolled: 7-line block ×4, first 2 shown]
	s_waitcnt lgkmcnt(0)
	v_lshrrev_b32_e32 v81, 16, v52
	s_waitcnt vmcnt(1)
	v_mul_f16_sdwa v82, v52, v62 dst_sel:DWORD dst_unused:UNUSED_PAD src0_sel:DWORD src1_sel:WORD_1
	v_lshrrev_b32_e32 v83, 16, v53
	v_mul_f16_sdwa v85, v43, v54 dst_sel:DWORD dst_unused:UNUSED_PAD src0_sel:DWORD src1_sel:WORD_1
	v_fma_f16 v43, v43, v54, v66
	v_mul_f16_sdwa v66, v67, v55 dst_sel:DWORD dst_unused:UNUSED_PAD src0_sel:DWORD src1_sel:WORD_1
	s_waitcnt vmcnt(0)
	v_mul_f16_sdwa v84, v53, v63 dst_sel:DWORD dst_unused:UNUSED_PAD src0_sel:DWORD src1_sel:WORD_1
	v_fma_f16 v67, v67, v55, v68
	v_mul_f16_sdwa v68, v69, v56 dst_sel:DWORD dst_unused:UNUSED_PAD src0_sel:DWORD src1_sel:WORD_1
	v_fma_f16 v69, v69, v56, v70
	;; [unrolled: 2-line block ×8, first 2 shown]
	v_mul_f16_sdwa v82, v83, v63 dst_sel:DWORD dst_unused:UNUSED_PAD src0_sel:DWORD src1_sel:WORD_1
	v_fma_f16 v44, v44, v54, -v85
	v_fma_f16 v45, v45, v55, -v66
	v_fma_f16 v83, v83, v63, v84
	v_fma_f16 v46, v46, v56, -v68
	v_fma_f16 v47, v47, v57, -v70
	;; [unrolled: 1-line block ×8, first 2 shown]
	v_pack_b32_f16 v43, v44, v43
	v_pack_b32_f16 v44, v45, v67
	;; [unrolled: 1-line block ×10, first 2 shown]
	ds_write2_b32 v7, v43, v44 offset0:54 offset1:108
	ds_write2_b32 v7, v45, v46 offset0:162 offset1:216
	;; [unrolled: 1-line block ×5, first 2 shown]
.LBB0_9:
	s_or_b64 exec, exec, s[0:1]
	s_waitcnt lgkmcnt(0)
	s_barrier
	s_and_saveexec_b64 s[0:1], vcc
	s_cbranch_execz .LBB0_11
; %bb.10:
	v_add_u32_e32 v8, 0x200, v5
	ds_read2_b32 v[20:21], v5 offset1:54
	ds_read2_b32 v[22:23], v5 offset0:108 offset1:162
	ds_read2_b32 v[24:25], v8 offset0:88 offset1:142
	v_add_u32_e32 v8, 0x400, v5
	ds_read2_b32 v[10:11], v8 offset0:68 offset1:122
	ds_read2_b32 v[8:9], v8 offset0:176 offset1:230
	ds_read_b32 v27, v5 offset:2160
	s_waitcnt lgkmcnt(5)
	v_lshrrev_b32_e32 v37, 16, v20
	v_lshrrev_b32_e32 v39, 16, v21
	s_waitcnt lgkmcnt(4)
	v_lshrrev_b32_e32 v40, 16, v22
	v_lshrrev_b32_e32 v38, 16, v23
	;; [unrolled: 3-line block ×5, first 2 shown]
	s_waitcnt lgkmcnt(0)
	v_lshrrev_b32_e32 v28, 16, v27
.LBB0_11:
	s_or_b64 exec, exec, s[0:1]
	s_barrier
	s_and_saveexec_b64 s[0:1], vcc
	s_cbranch_execz .LBB0_13
; %bb.12:
	v_add_f16_e32 v43, v28, v39
	v_mul_f16_e32 v44, 0xbbad, v43
	v_sub_f16_e32 v45, v21, v27
	s_movk_i32 s16, 0x3482
	v_add_f16_e32 v47, v29, v40
	v_fma_f16 v46, v45, s16, v44
	v_mul_f16_e32 v48, 0x3abb, v47
	v_sub_f16_e32 v49, v22, v9
	s_mov_b32 s14, 0xb853
	v_add_f16_e32 v46, v37, v46
	v_fma_f16 v50, v49, s14, v48
	v_add_f16_e32 v46, v50, v46
	v_add_f16_e32 v50, v30, v38
	v_mul_f16_e32 v51, 0xb93d, v50
	v_sub_f16_e32 v52, v23, v8
	s_movk_i32 s23, 0x3a0c
	v_fma_f16 v53, v52, s23, v51
	v_add_f16_e32 v46, v53, v46
	v_add_f16_e32 v53, v31, v41
	v_mul_f16_e32 v54, 0x36a6, v53
	v_sub_f16_e32 v55, v24, v11
	s_mov_b32 s17, 0xbb47
	v_fma_f16 v56, v55, s17, v54
	v_add_f16_e32 v46, v56, v46
	v_add_f16_e32 v56, v32, v42
	v_mul_f16_e32 v57, 0xb08e, v56
	v_sub_f16_e32 v58, v25, v10
	s_movk_i32 s20, 0x3beb
	v_fma_f16 v59, v58, s20, v57
	v_sub_f16_e32 v60, v39, v28
	s_mov_b32 s4, 0xbbad
	v_add_f16_e32 v46, v59, v46
	v_add_f16_e32 v59, v27, v21
	v_mul_f16_e32 v61, 0xb482, v60
	v_sub_f16_e32 v64, v40, v29
	s_movk_i32 s5, 0x3abb
	v_fma_f16 v62, v59, s4, v61
	v_add_f16_e32 v63, v9, v22
	v_mul_f16_e32 v65, 0x3853, v64
	v_add_f16_e32 v62, v20, v62
	v_fma_f16 v66, v63, s5, v65
	v_sub_f16_e32 v67, v38, v30
	s_mov_b32 s6, 0xb93d
	v_add_f16_e32 v62, v66, v62
	v_add_f16_e32 v66, v8, v23
	v_mul_f16_e32 v68, 0xba0c, v67
	v_fma_f16 v69, v66, s6, v68
	v_sub_f16_e32 v70, v41, v31
	s_movk_i32 s7, 0x36a6
	v_add_f16_e32 v62, v69, v62
	v_add_f16_e32 v69, v11, v24
	v_mul_f16_e32 v71, 0x3b47, v70
	v_fma_f16 v72, v69, s7, v71
	v_sub_f16_e32 v73, v42, v32
	s_mov_b32 s15, 0xb08e
	v_add_f16_e32 v62, v72, v62
	v_add_f16_e32 v72, v10, v25
	v_mul_f16_e32 v74, 0xbbeb, v73
	v_fma_f16 v75, v72, s15, v74
	v_add_f16_e32 v62, v75, v62
	v_mul_f16_e32 v75, 0xb93d, v43
	s_mov_b32 s22, 0xbbeb
	v_fma_f16 v76, v45, s23, v75
	v_mul_f16_e32 v77, 0xb08e, v47
	v_add_f16_e32 v76, v37, v76
	v_fma_f16 v78, v49, s22, v77
	s_movk_i32 s21, 0x3853
	v_add_f16_e32 v76, v78, v76
	v_mul_f16_e32 v78, 0x3abb, v50
	v_fma_f16 v79, v52, s21, v78
	v_add_f16_e32 v76, v79, v76
	v_mul_f16_e32 v79, 0xbbad, v53
	v_fma_f16 v80, v55, s16, v79
	;; [unrolled: 3-line block ×3, first 2 shown]
	v_add_f16_e32 v21, v21, v20
	v_add_f16_e32 v76, v81, v76
	v_mul_f16_e32 v81, 0xba0c, v60
	v_add_f16_e32 v21, v22, v21
	v_fma_f16 v82, v59, s6, v81
	v_mul_f16_e32 v83, 0x3beb, v64
	v_add_f16_e32 v21, v23, v21
	v_add_f16_e32 v82, v20, v82
	v_fma_f16 v84, v63, s15, v83
	v_add_f16_e32 v21, v24, v21
	v_add_f16_e32 v82, v84, v82
	v_mul_f16_e32 v84, 0xb853, v67
	v_add_f16_e32 v21, v25, v21
	v_fma_f16 v85, v66, s5, v84
	v_add_f16_e32 v10, v10, v21
	s_mov_b32 s18, 0xb482
	v_add_f16_e32 v82, v85, v82
	v_mul_f16_e32 v85, 0xb482, v70
	v_add_f16_e32 v10, v11, v10
	v_fma_f16 v86, v69, s4, v85
	v_add_f16_e32 v8, v8, v10
	v_fma_f16 v10, v45, s18, v44
	s_mov_b32 s19, 0xba0c
	v_add_f16_e32 v82, v86, v82
	v_mul_f16_e32 v86, 0x3b47, v73
	v_add_f16_e32 v10, v37, v10
	v_fma_f16 v11, v49, s21, v48
	s_movk_i32 s24, 0x3b47
	v_fma_f16 v87, v72, s7, v86
	v_add_f16_e32 v10, v11, v10
	v_fma_f16 v11, v52, s19, v51
	v_add_f16_e32 v82, v87, v82
	v_mul_f16_e32 v87, 0xb08e, v43
	v_add_f16_e32 v10, v11, v10
	v_fma_f16 v11, v55, s24, v54
	v_fma_f16 v88, v45, s20, v87
	v_mul_f16_e32 v89, 0xbbad, v47
	v_add_f16_e32 v10, v11, v10
	v_fma_f16 v11, v58, s22, v57
	v_add_f16_e32 v88, v37, v88
	v_fma_f16 v90, v49, s18, v89
	v_add_f16_e32 v10, v11, v10
	v_fma_f16 v11, v59, s4, -v61
	v_add_f16_e32 v88, v90, v88
	v_mul_f16_e32 v90, 0x36a6, v50
	v_add_f16_e32 v11, v20, v11
	v_fma_f16 v21, v63, s5, -v65
	v_fma_f16 v91, v52, s17, v90
	v_add_f16_e32 v11, v21, v11
	v_fma_f16 v21, v66, s6, -v68
	v_add_f16_e32 v88, v91, v88
	v_mul_f16_e32 v91, 0x3abb, v53
	v_add_f16_e32 v11, v21, v11
	v_fma_f16 v21, v69, s7, -v71
	v_fma_f16 v92, v55, s21, v91
	v_add_f16_e32 v11, v21, v11
	v_fma_f16 v21, v72, s15, -v74
	v_add_f16_e32 v88, v92, v88
	v_mul_f16_e32 v92, 0xb93d, v56
	v_add_f16_e32 v11, v21, v11
	v_fma_f16 v21, v45, s19, v75
	v_fma_f16 v93, v58, s23, v92
	v_add_f16_e32 v21, v37, v21
	v_fma_f16 v22, v49, s20, v77
	v_add_f16_e32 v88, v93, v88
	v_mul_f16_e32 v93, 0xbbeb, v60
	v_add_f16_e32 v21, v22, v21
	v_fma_f16 v22, v52, s14, v78
	v_fma_f16 v94, v59, s15, v93
	v_mul_f16_e32 v95, 0x3482, v64
	v_add_f16_e32 v21, v22, v21
	v_fma_f16 v22, v55, s18, v79
	v_add_f16_e32 v94, v20, v94
	v_fma_f16 v96, v63, s4, v95
	;; [unrolled: 2-line block ×3, first 2 shown]
	v_add_f16_e32 v94, v96, v94
	v_mul_f16_e32 v96, 0x3b47, v67
	v_add_f16_e32 v21, v22, v21
	v_fma_f16 v22, v59, s6, -v81
	v_fma_f16 v97, v66, s7, v96
	v_add_f16_e32 v22, v20, v22
	v_fma_f16 v23, v63, s15, -v83
	v_add_f16_e32 v94, v97, v94
	v_mul_f16_e32 v97, 0xb853, v70
	v_add_f16_e32 v22, v23, v22
	v_fma_f16 v23, v66, s5, -v84
	v_fma_f16 v98, v69, s5, v97
	v_add_f16_e32 v22, v23, v22
	v_fma_f16 v23, v69, s4, -v85
	v_add_f16_e32 v94, v98, v94
	v_mul_f16_e32 v98, 0xba0c, v73
	v_add_f16_e32 v22, v23, v22
	v_fma_f16 v23, v72, s7, -v86
	v_fma_f16 v99, v72, s6, v98
	v_add_f16_e32 v22, v23, v22
	v_fma_f16 v23, v45, s22, v87
	v_add_f16_e32 v94, v99, v94
	v_mul_f16_e32 v99, 0x36a6, v43
	v_add_f16_e32 v23, v37, v23
	v_fma_f16 v24, v49, s16, v89
	v_fma_f16 v100, v45, s24, v99
	v_mul_f16_e32 v101, 0xb93d, v47
	v_add_f16_e32 v23, v24, v23
	v_fma_f16 v24, v52, s24, v90
	v_add_f16_e32 v100, v37, v100
	v_fma_f16 v102, v49, s23, v101
	;; [unrolled: 2-line block ×3, first 2 shown]
	v_add_f16_e32 v100, v102, v100
	v_mul_f16_e32 v102, 0xbbad, v50
	v_add_f16_e32 v23, v24, v23
	v_fma_f16 v24, v58, s19, v92
	v_fma_f16 v103, v52, s18, v102
	v_add_f16_e32 v23, v24, v23
	v_fma_f16 v24, v59, s15, -v93
	v_add_f16_e32 v100, v103, v100
	v_mul_f16_e32 v103, 0xb08e, v53
	v_add_f16_e32 v24, v20, v24
	v_fma_f16 v25, v63, s4, -v95
	v_fma_f16 v104, v55, s22, v103
	v_add_f16_e32 v8, v9, v8
	v_add_f16_e32 v9, v39, v37
	;; [unrolled: 1-line block ×3, first 2 shown]
	v_fma_f16 v25, v66, s7, -v96
	v_add_f16_e32 v100, v104, v100
	v_mul_f16_e32 v104, 0x3abb, v56
	v_add_f16_e32 v9, v40, v9
	v_add_f16_e32 v24, v25, v24
	v_fma_f16 v25, v69, s5, -v97
	v_fma_f16 v105, v58, s14, v104
	v_add_f16_e32 v9, v38, v9
	v_add_f16_e32 v24, v25, v24
	v_fma_f16 v25, v72, s6, -v98
	v_add_f16_e32 v100, v105, v100
	v_mul_f16_e32 v105, 0xbb47, v60
	v_add_f16_e32 v9, v41, v9
	v_add_f16_e32 v24, v25, v24
	v_fma_f16 v25, v45, s17, v99
	v_fma_f16 v106, v59, s7, v105
	v_mul_f16_e32 v107, 0xba0c, v64
	v_add_f16_e32 v8, v27, v8
	v_add_f16_e32 v9, v42, v9
	;; [unrolled: 1-line block ×3, first 2 shown]
	v_fma_f16 v27, v49, s19, v101
	v_add_f16_e32 v106, v20, v106
	v_fma_f16 v108, v63, s6, v107
	v_add_f16_e32 v9, v32, v9
	v_add_f16_e32 v25, v27, v25
	v_fma_f16 v27, v52, s16, v102
	v_add_f16_e32 v106, v108, v106
	v_mul_f16_e32 v108, 0x3482, v67
	v_add_f16_e32 v9, v31, v9
	v_add_f16_e32 v25, v27, v25
	v_fma_f16 v27, v55, s20, v103
	v_fma_f16 v109, v66, s4, v108
	v_add_f16_e32 v9, v30, v9
	v_add_f16_e32 v25, v27, v25
	v_fma_f16 v27, v58, s21, v104
	v_add_f16_e32 v106, v109, v106
	v_mul_f16_e32 v109, 0x3beb, v70
	v_add_f16_e32 v9, v29, v9
	v_add_f16_e32 v25, v27, v25
	v_fma_f16 v27, v59, s7, -v105
	v_fma_f16 v110, v69, s15, v109
	v_add_f16_e32 v9, v28, v9
	v_add_f16_e32 v27, v20, v27
	v_fma_f16 v28, v63, s6, -v107
	v_add_f16_e32 v106, v110, v106
	v_mul_f16_e32 v110, 0x3853, v73
	v_add_f16_e32 v27, v28, v27
	v_fma_f16 v28, v66, s4, -v108
	v_fma_f16 v111, v72, s5, v110
	v_mul_f16_e32 v43, 0x3abb, v43
	v_add_f16_e32 v27, v28, v27
	v_fma_f16 v28, v69, s15, -v109
	v_add_f16_e32 v106, v111, v106
	v_fma_f16 v111, v45, s21, v43
	v_mul_f16_e32 v47, 0x36a6, v47
	v_add_f16_e32 v27, v28, v27
	v_fma_f16 v28, v72, s5, -v110
	v_add_f16_e32 v111, v37, v111
	v_fma_f16 v112, v49, s24, v47
	v_mul_f16_e32 v50, 0xb08e, v50
	v_add_f16_e32 v27, v28, v27
	v_fma_f16 v28, v45, s14, v43
	v_add_f16_e32 v111, v112, v111
	v_fma_f16 v112, v52, s20, v50
	v_mul_f16_e32 v53, 0xb93d, v53
	v_add_f16_e32 v28, v37, v28
	v_fma_f16 v29, v49, s17, v47
	;; [unrolled: 5-line block ×5, first 2 shown]
	v_add_f16_e32 v112, v20, v112
	v_fma_f16 v113, v63, s7, v64
	v_mul_f16_e32 v67, 0xbbeb, v67
	v_add_f16_e32 v28, v29, v28
	v_fma_f16 v29, v59, s5, -v60
	v_add_f16_e32 v112, v113, v112
	v_fma_f16 v113, v66, s15, v67
	v_mul_f16_e32 v70, 0xba0c, v70
	v_add_f16_e32 v20, v20, v29
	v_fma_f16 v29, v63, s7, -v64
	;; [unrolled: 5-line block ×3, first 2 shown]
	v_add_f16_e32 v112, v113, v112
	v_fma_f16 v113, v72, s4, v73
	v_add_f16_e32 v20, v29, v20
	v_fma_f16 v29, v69, s6, -v70
	v_add_f16_e32 v112, v113, v112
	v_add_f16_e32 v20, v29, v20
	v_fma_f16 v29, v72, s4, -v73
	v_add_f16_e32 v20, v29, v20
	v_lshlrev_b32_e32 v26, 2, v26
	v_pack_b32_f16 v29, v112, v111
	v_pack_b32_f16 v8, v8, v9
	ds_write2_b32 v26, v8, v29 offset1:1
	v_pack_b32_f16 v8, v94, v88
	v_pack_b32_f16 v9, v106, v100
	ds_write2_b32 v26, v9, v8 offset0:2 offset1:3
	v_pack_b32_f16 v8, v62, v46
	v_pack_b32_f16 v9, v82, v76
	ds_write2_b32 v26, v9, v8 offset0:4 offset1:5
	;; [unrolled: 3-line block ×4, first 2 shown]
	v_pack_b32_f16 v8, v20, v28
	ds_write_b32 v26, v8 offset:40
.LBB0_13:
	s_or_b64 exec, exec, s[0:1]
	v_add_u32_e32 v22, 0x200, v5
	s_waitcnt lgkmcnt(0)
	s_barrier
	ds_read2_b32 v[10:11], v22 offset0:70 offset1:169
	v_add_u32_e32 v23, 0x400, v5
	ds_read2_b32 v[20:21], v23 offset0:140 offset1:239
	ds_read2_b32 v[8:9], v5 offset1:99
	s_mov_b32 s0, 0xbaee
	s_waitcnt lgkmcnt(2)
	v_lshrrev_b32_e32 v25, 16, v10
	v_mul_f16_sdwa v30, v12, v25 dst_sel:DWORD dst_unused:UNUSED_PAD src0_sel:WORD_1 src1_sel:DWORD
	s_waitcnt lgkmcnt(1)
	v_lshrrev_b32_e32 v26, 16, v20
	v_fma_f16 v30, v12, v10, v30
	v_mul_f16_sdwa v10, v12, v10 dst_sel:DWORD dst_unused:UNUSED_PAD src0_sel:WORD_1 src1_sel:DWORD
	v_fma_f16 v10, v12, v25, -v10
	v_mul_f16_sdwa v12, v13, v26 dst_sel:DWORD dst_unused:UNUSED_PAD src0_sel:WORD_1 src1_sel:DWORD
	v_lshrrev_b32_e32 v28, 16, v11
	v_fma_f16 v12, v13, v20, v12
	v_mul_f16_sdwa v20, v13, v20 dst_sel:DWORD dst_unused:UNUSED_PAD src0_sel:WORD_1 src1_sel:DWORD
	v_fma_f16 v13, v13, v26, -v20
	v_mul_f16_sdwa v20, v14, v28 dst_sel:DWORD dst_unused:UNUSED_PAD src0_sel:WORD_1 src1_sel:DWORD
	;; [unrolled: 5-line block ×3, first 2 shown]
	v_fma_f16 v14, v15, v21, v14
	v_mul_f16_sdwa v21, v15, v21 dst_sel:DWORD dst_unused:UNUSED_PAD src0_sel:WORD_1 src1_sel:DWORD
	v_add_f16_e32 v25, v30, v12
	s_waitcnt lgkmcnt(0)
	v_lshrrev_b32_e32 v24, 16, v8
	v_fma_f16 v15, v15, v29, -v21
	v_add_f16_e32 v21, v8, v30
	v_fma_f16 v8, v25, -0.5, v8
	v_sub_f16_e32 v25, v10, v13
	s_movk_i32 s1, 0x3aee
	v_fma_f16 v26, v25, s0, v8
	v_fma_f16 v8, v25, s1, v8
	v_add_f16_e32 v25, v24, v10
	v_add_f16_e32 v10, v10, v13
	;; [unrolled: 1-line block ×3, first 2 shown]
	v_fma_f16 v10, v10, -0.5, v24
	v_sub_f16_e32 v12, v30, v12
	v_add_f16_e32 v24, v20, v14
	v_lshrrev_b32_e32 v27, 16, v9
	v_add_f16_e32 v25, v25, v13
	v_fma_f16 v13, v12, s1, v10
	v_fma_f16 v10, v12, s0, v10
	v_add_f16_e32 v12, v9, v20
	v_fma_f16 v9, v24, -0.5, v9
	v_sub_f16_e32 v24, v11, v15
	v_fma_f16 v28, v24, s0, v9
	v_fma_f16 v9, v24, s1, v9
	v_add_f16_e32 v24, v27, v11
	v_add_f16_e32 v11, v11, v15
	v_add_f16_e32 v12, v12, v14
	v_fma_f16 v11, v11, -0.5, v27
	v_sub_f16_e32 v14, v20, v14
	v_add_f16_e32 v24, v24, v15
	v_fma_f16 v15, v14, s1, v11
	v_pack_b32_f16 v8, v8, v10
	v_fma_f16 v11, v14, s0, v11
	s_barrier
	v_pack_b32_f16 v14, v21, v25
	v_pack_b32_f16 v13, v26, v13
	ds_write_b32 v33, v8 offset:88
	v_pack_b32_f16 v8, v12, v24
	v_pack_b32_f16 v10, v28, v15
	ds_write2_b32 v33, v14, v13 offset1:11
	ds_write2_b32 v34, v8, v10 offset1:11
	v_pack_b32_f16 v8, v9, v11
	ds_write_b32 v34, v8 offset:88
	s_waitcnt lgkmcnt(0)
	s_barrier
	ds_read2_b32 v[8:9], v5 offset1:99
	ds_read2_b32 v[10:11], v22 offset0:70 offset1:169
	ds_read2_b32 v[12:13], v23 offset0:140 offset1:239
	s_waitcnt lgkmcnt(0)
	s_barrier
	v_lshrrev_b32_e32 v15, 16, v9
	v_mul_f16_sdwa v26, v0, v15 dst_sel:DWORD dst_unused:UNUSED_PAD src0_sel:WORD_1 src1_sel:DWORD
	v_lshrrev_b32_e32 v20, 16, v10
	v_fma_f16 v26, v0, v9, v26
	v_mul_f16_sdwa v9, v0, v9 dst_sel:DWORD dst_unused:UNUSED_PAD src0_sel:WORD_1 src1_sel:DWORD
	v_fma_f16 v0, v0, v15, -v9
	v_mul_f16_sdwa v9, v1, v20 dst_sel:DWORD dst_unused:UNUSED_PAD src0_sel:WORD_1 src1_sel:DWORD
	v_lshrrev_b32_e32 v21, 16, v11
	v_fma_f16 v9, v1, v10, v9
	v_mul_f16_sdwa v10, v1, v10 dst_sel:DWORD dst_unused:UNUSED_PAD src0_sel:WORD_1 src1_sel:DWORD
	v_fma_f16 v1, v1, v20, -v10
	;; [unrolled: 5-line block ×3, first 2 shown]
	v_mul_f16_sdwa v11, v3, v24 dst_sel:DWORD dst_unused:UNUSED_PAD src0_sel:WORD_1 src1_sel:DWORD
	v_fma_f16 v11, v3, v12, v11
	v_mul_f16_sdwa v12, v3, v12 dst_sel:DWORD dst_unused:UNUSED_PAD src0_sel:WORD_1 src1_sel:DWORD
	v_lshrrev_b32_e32 v25, 16, v13
	v_fma_f16 v3, v3, v24, -v12
	v_add_f16_e32 v20, v9, v11
	v_lshrrev_b32_e32 v14, 16, v8
	v_mul_f16_sdwa v12, v35, v25 dst_sel:DWORD dst_unused:UNUSED_PAD src0_sel:WORD_1 src1_sel:DWORD
	v_add_f16_e32 v15, v8, v9
	v_fma_f16 v8, v20, -0.5, v8
	v_sub_f16_e32 v20, v1, v3
	v_fma_f16 v12, v35, v13, v12
	v_mul_f16_sdwa v13, v35, v13 dst_sel:DWORD dst_unused:UNUSED_PAD src0_sel:WORD_1 src1_sel:DWORD
	v_fma_f16 v21, v20, s0, v8
	v_fma_f16 v8, v20, s1, v8
	v_add_f16_e32 v20, v14, v1
	v_fma_f16 v13, v35, v25, -v13
	v_add_f16_e32 v15, v15, v11
	v_add_f16_e32 v20, v20, v3
	;; [unrolled: 1-line block ×3, first 2 shown]
	v_sub_f16_e32 v3, v9, v11
	v_add_f16_e32 v11, v10, v12
	v_fma_f16 v1, v1, -0.5, v14
	v_fma_f16 v11, v11, -0.5, v26
	v_sub_f16_e32 v14, v2, v13
	v_fma_f16 v24, v14, s0, v11
	v_fma_f16 v11, v14, s1, v11
	v_add_f16_e32 v14, v0, v2
	v_add_f16_e32 v2, v2, v13
	v_fma_f16 v0, v2, -0.5, v0
	v_sub_f16_e32 v2, v10, v12
	v_fma_f16 v9, v3, s1, v1
	v_fma_f16 v1, v3, s0, v1
	v_add_f16_e32 v3, v26, v10
	v_fma_f16 v10, v2, s1, v0
	v_add_f16_e32 v3, v3, v12
	v_fma_f16 v0, v2, s0, v0
	v_mul_f16_e32 v12, 0xbaee, v10
	v_mul_f16_e32 v10, 0.5, v10
	v_add_f16_e32 v14, v14, v13
	v_fma_f16 v12, v24, 0.5, v12
	v_mul_f16_e32 v25, 0xbaee, v0
	v_fma_f16 v10, v24, s1, v10
	v_mul_f16_e32 v0, -0.5, v0
	v_add_f16_e32 v2, v15, v3
	v_add_f16_e32 v13, v21, v12
	v_fma_f16 v25, v11, -0.5, v25
	v_add_f16_e32 v27, v20, v14
	v_add_f16_e32 v24, v9, v10
	v_fma_f16 v0, v11, s1, v0
	v_add_f16_e32 v26, v8, v25
	v_add_f16_e32 v11, v1, v0
	v_sub_f16_e32 v3, v15, v3
	v_sub_f16_e32 v14, v20, v14
	;; [unrolled: 1-line block ×3, first 2 shown]
	v_pack_b32_f16 v1, v2, v27
	v_pack_b32_f16 v2, v13, v24
	v_sub_f16_e32 v12, v21, v12
	v_sub_f16_e32 v8, v8, v25
	;; [unrolled: 1-line block ×3, first 2 shown]
	ds_write2_b32 v36, v1, v2 offset1:33
	v_pack_b32_f16 v1, v26, v11
	v_pack_b32_f16 v2, v3, v14
	ds_write2_b32 v36, v1, v2 offset0:66 offset1:99
	v_pack_b32_f16 v1, v12, v9
	v_pack_b32_f16 v0, v8, v0
	ds_write2_b32 v36, v1, v0 offset0:132 offset1:165
	s_waitcnt lgkmcnt(0)
	s_barrier
	ds_read2_b32 v[0:1], v5 offset1:99
	ds_read2_b32 v[2:3], v22 offset0:70 offset1:169
	ds_read2_b32 v[8:9], v23 offset0:140 offset1:239
	s_waitcnt lgkmcnt(2)
	v_lshrrev_b32_e32 v10, 16, v0
	s_waitcnt lgkmcnt(1)
	v_lshrrev_b32_e32 v11, 16, v2
	v_mul_f16_sdwa v20, v16, v11 dst_sel:DWORD dst_unused:UNUSED_PAD src0_sel:WORD_1 src1_sel:DWORD
	s_waitcnt lgkmcnt(0)
	v_lshrrev_b32_e32 v12, 16, v8
	v_fma_f16 v20, v16, v2, v20
	v_mul_f16_sdwa v2, v16, v2 dst_sel:DWORD dst_unused:UNUSED_PAD src0_sel:WORD_1 src1_sel:DWORD
	v_fma_f16 v2, v16, v11, -v2
	v_mul_f16_sdwa v11, v17, v12 dst_sel:DWORD dst_unused:UNUSED_PAD src0_sel:WORD_1 src1_sel:DWORD
	v_lshrrev_b32_e32 v14, 16, v3
	v_fma_f16 v11, v17, v8, v11
	v_mul_f16_sdwa v8, v17, v8 dst_sel:DWORD dst_unused:UNUSED_PAD src0_sel:WORD_1 src1_sel:DWORD
	v_fma_f16 v8, v17, v12, -v8
	v_mul_f16_sdwa v12, v18, v14 dst_sel:DWORD dst_unused:UNUSED_PAD src0_sel:WORD_1 src1_sel:DWORD
	;; [unrolled: 5-line block ×3, first 2 shown]
	v_fma_f16 v14, v19, v9, v14
	v_mul_f16_sdwa v9, v19, v9 dst_sel:DWORD dst_unused:UNUSED_PAD src0_sel:WORD_1 src1_sel:DWORD
	v_add_f16_e32 v16, v20, v11
	v_fma_f16 v9, v19, v15, -v9
	v_add_f16_e32 v15, v0, v20
	v_fma_f16 v0, v16, -0.5, v0
	v_sub_f16_e32 v16, v2, v8
	v_fma_f16 v17, v16, s0, v0
	v_fma_f16 v0, v16, s1, v0
	v_add_f16_e32 v16, v10, v2
	v_add_f16_e32 v2, v2, v8
	;; [unrolled: 1-line block ×4, first 2 shown]
	v_fma_f16 v2, v2, -0.5, v10
	v_sub_f16_e32 v8, v20, v11
	v_add_f16_e32 v11, v12, v14
	v_lshrrev_b32_e32 v13, 16, v1
	v_fma_f16 v10, v8, s1, v2
	v_fma_f16 v2, v8, s0, v2
	v_add_f16_e32 v8, v1, v12
	v_fma_f16 v1, v11, -0.5, v1
	v_sub_f16_e32 v11, v3, v9
	v_fma_f16 v18, v11, s0, v1
	v_fma_f16 v1, v11, s1, v1
	v_add_f16_e32 v11, v13, v3
	v_add_f16_e32 v3, v3, v9
	;; [unrolled: 1-line block ×4, first 2 shown]
	v_fma_f16 v3, v3, -0.5, v13
	v_sub_f16_e32 v9, v12, v14
	v_fma_f16 v12, v9, s1, v3
	v_fma_f16 v3, v9, s0, v3
	v_pack_b32_f16 v9, v15, v16
	v_pack_b32_f16 v0, v0, v2
	;; [unrolled: 1-line block ×4, first 2 shown]
	ds_write2_b32 v5, v9, v2 offset1:99
	v_pack_b32_f16 v2, v18, v12
	v_pack_b32_f16 v1, v1, v3
	ds_write2_b32 v22, v10, v2 offset0:70 offset1:169
	ds_write2_b32 v23, v0, v1 offset0:140 offset1:239
	s_waitcnt lgkmcnt(0)
	s_barrier
	s_and_b64 exec, exec, vcc
	s_cbranch_execz .LBB0_15
; %bb.14:
	global_load_dword v13, v7, s[12:13]
	ds_read_b32 v16, v5
	global_load_dword v9, v7, s[12:13] offset:216
	global_load_dword v10, v7, s[12:13] offset:432
	;; [unrolled: 1-line block ×7, first 2 shown]
	v_mad_u64_u32 v[2:3], s[0:1], s10, v6, 0
	v_mov_b32_e32 v18, v3
	s_waitcnt lgkmcnt(0)
	v_lshrrev_b32_e32 v3, 16, v16
	s_mov_b32 s6, 0x2b18ff23
	s_mov_b32 s7, 0x3f5b951e
	s_movk_i32 s10, 0x1ff
	s_mov_b32 s16, 0x8000
	s_movk_i32 s14, 0xffe
	v_mov_b32_e32 v0, s2
	v_mov_b32_e32 v1, s3
	;; [unrolled: 1-line block ×3, first 2 shown]
	s_movk_i32 s15, 0x40f
	s_waitcnt vmcnt(7)
	v_mul_f16_sdwa v19, v16, v13 dst_sel:DWORD dst_unused:UNUSED_PAD src0_sel:DWORD src1_sel:WORD_1
	v_mul_f16_sdwa v17, v3, v13 dst_sel:DWORD dst_unused:UNUSED_PAD src0_sel:DWORD src1_sel:WORD_1
	v_fma_f16 v3, v13, v3, -v19
	v_fma_f16 v16, v16, v13, v17
	v_cvt_f32_f16_e32 v19, v3
	v_cvt_f32_f16_e32 v13, v16
	v_mad_u64_u32 v[16:17], s[0:1], s11, v6, v[18:19]
	v_mov_b32_e32 v3, v16
	v_cvt_f64_f32_e32 v[16:17], v13
	v_cvt_f64_f32_e32 v[18:19], v19
	v_mul_f64 v[16:17], v[16:17], s[6:7]
	v_mul_f64 v[18:19], v[18:19], s[6:7]
	v_and_or_b32 v6, v17, s10, v16
	v_lshrrev_b32_e32 v13, 8, v17
	v_bfe_u32 v16, v17, 20, 11
	v_and_b32_sdwa v22, v17, s16 dst_sel:DWORD dst_unused:UNUSED_PAD src0_sel:WORD_1 src1_sel:DWORD
	v_and_or_b32 v17, v19, s10, v18
	v_cmp_ne_u32_e32 vcc, 0, v6
	v_lshrrev_b32_e32 v18, 8, v19
	v_bfe_u32 v20, v19, 20, 11
	v_cndmask_b32_e64 v6, 0, 1, vcc
	v_cmp_ne_u32_e32 vcc, 0, v17
	v_sub_u32_e32 v21, 0x3f1, v16
	v_and_or_b32 v6, v13, s14, v6
	v_cndmask_b32_e64 v17, 0, 1, vcc
	v_sub_u32_e32 v23, 0x3f1, v20
	v_med3_i32 v13, v21, 0, 13
	v_and_or_b32 v17, v18, s14, v17
	v_or_b32_e32 v21, 0x1000, v6
	v_add_u32_e32 v16, 0xfffffc10, v16
	v_med3_i32 v18, v23, 0, 13
	v_cmp_ne_u32_e32 vcc, 0, v6
	v_or_b32_e32 v24, 0x1000, v17
	v_lshrrev_b32_e32 v26, v13, v21
	v_add_u32_e32 v20, 0xfffffc10, v20
	v_lshl_or_b32 v23, v16, 12, v6
	v_cndmask_b32_e64 v6, 0, 1, vcc
	v_cmp_ne_u32_e32 vcc, 0, v17
	v_lshrrev_b32_e32 v27, v18, v24
	v_lshlrev_b32_e32 v13, v13, v26
	v_lshl_or_b32 v25, v20, 12, v17
	v_cndmask_b32_e64 v17, 0, 1, vcc
	v_lshlrev_b32_e32 v18, v18, v27
	v_cmp_ne_u32_e32 vcc, v13, v21
	v_lshl_or_b32 v6, v6, 9, v5
	v_lshl_or_b32 v17, v17, 9, v5
	v_cndmask_b32_e64 v13, 0, 1, vcc
	v_cmp_ne_u32_e32 vcc, v18, v24
	v_or_b32_e32 v13, v26, v13
	v_lshrrev_b32_e32 v19, 16, v19
	v_cndmask_b32_e64 v18, 0, 1, vcc
	v_cmp_gt_i32_e32 vcc, 1, v16
	v_or_b32_e32 v18, v27, v18
	v_lshl_add_u64 v[0:1], v[2:3], 2, v[0:1]
	v_cndmask_b32_e32 v13, v23, v13, vcc
	v_cmp_gt_i32_e32 vcc, 1, v20
	v_and_b32_e32 v21, 7, v13
	v_cmp_eq_u32_e64 s[0:1], 3, v21
	v_cndmask_b32_e32 v18, v25, v18, vcc
	v_cmp_lt_i32_e32 vcc, 5, v21
	v_lshrrev_b32_e32 v13, 2, v13
	v_and_b32_e32 v23, 7, v18
	s_or_b64 vcc, s[0:1], vcc
	v_cmp_lt_i32_e64 s[2:3], 5, v23
	v_cmp_eq_u32_e64 s[4:5], 3, v23
	v_addc_co_u32_e32 v13, vcc, 0, v13, vcc
	v_lshrrev_b32_e32 v18, 2, v18
	s_or_b64 vcc, s[4:5], s[2:3]
	v_addc_co_u32_e32 v18, vcc, 0, v18, vcc
	v_cmp_gt_i32_e32 vcc, 31, v16
	s_mov_b32 s2, 0xffff
	s_mul_i32 s3, s9, 0xd8
	v_cndmask_b32_e32 v13, v5, v13, vcc
	v_cmp_gt_i32_e32 vcc, 31, v20
	s_nop 1
	v_cndmask_b32_e32 v18, v5, v18, vcc
	v_cmp_eq_u32_e32 vcc, s15, v16
	s_nop 1
	v_cndmask_b32_e32 v13, v13, v6, vcc
	v_cmp_eq_u32_e32 vcc, s15, v20
	ds_read2_b32 v[20:21], v7 offset0:54 offset1:108
	s_nop 0
	v_cndmask_b32_e32 v6, v18, v17, vcc
	v_mad_u64_u32 v[16:17], s[0:1], s8, v4, 0
	v_and_or_b32 v23, v19, s16, v6
	v_mov_b32_e32 v6, v17
	v_mad_u64_u32 v[18:19], s[0:1], s9, v4, v[6:7]
	s_waitcnt lgkmcnt(0)
	v_lshrrev_b32_e32 v6, 16, v20
	v_bitop3_b32 v4, v22, s2, v13 bitop3:0xc8
	s_waitcnt vmcnt(6)
	v_mul_f16_sdwa v13, v6, v9 dst_sel:DWORD dst_unused:UNUSED_PAD src0_sel:DWORD src1_sel:WORD_1
	v_fma_f16 v13, v20, v9, v13
	v_cvt_f32_f16_e32 v13, v13
	v_mov_b32_e32 v17, v18
	v_lshl_or_b32 v4, v23, 16, v4
	v_lshl_add_u64 v[0:1], v[16:17], 2, v[0:1]
	v_cvt_f64_f32_e32 v[2:3], v13
	v_mul_f64 v[2:3], v[2:3], s[6:7]
	v_and_or_b32 v2, v3, s10, v2
	v_cmp_ne_u32_e32 vcc, 0, v2
	global_store_dword v[0:1], v4, off
	v_lshrrev_b32_e32 v4, 8, v3
	v_cndmask_b32_e64 v2, 0, 1, vcc
	v_bfe_u32 v13, v3, 20, 11
	v_and_or_b32 v2, v4, s14, v2
	v_sub_u32_e32 v16, 0x3f1, v13
	v_or_b32_e32 v4, 0x1000, v2
	v_med3_i32 v16, v16, 0, 13
	v_lshrrev_b32_e32 v17, v16, v4
	v_lshlrev_b32_e32 v16, v16, v17
	v_cmp_ne_u32_e32 vcc, v16, v4
	v_add_u32_e32 v13, 0xfffffc10, v13
	v_lshl_or_b32 v16, v13, 12, v2
	v_cndmask_b32_e64 v4, 0, 1, vcc
	v_or_b32_e32 v4, v17, v4
	v_cmp_gt_i32_e32 vcc, 1, v13
	s_nop 1
	v_cndmask_b32_e32 v4, v16, v4, vcc
	v_and_b32_e32 v16, 7, v4
	v_cmp_lt_i32_e32 vcc, 5, v16
	v_cmp_eq_u32_e64 s[0:1], 3, v16
	v_lshrrev_b32_e32 v4, 2, v4
	s_or_b64 vcc, s[0:1], vcc
	v_mul_f16_sdwa v16, v20, v9 dst_sel:DWORD dst_unused:UNUSED_PAD src0_sel:DWORD src1_sel:WORD_1
	v_addc_co_u32_e32 v4, vcc, 0, v4, vcc
	v_fma_f16 v6, v9, v6, -v16
	v_cmp_gt_i32_e32 vcc, 31, v13
	v_cvt_f32_f16_e32 v6, v6
	v_and_b32_sdwa v9, v3, s16 dst_sel:DWORD dst_unused:UNUSED_PAD src0_sel:WORD_1 src1_sel:DWORD
	v_cndmask_b32_e32 v4, v5, v4, vcc
	v_cmp_ne_u32_e32 vcc, 0, v2
	s_nop 1
	v_cndmask_b32_e64 v2, 0, 1, vcc
	v_lshl_or_b32 v2, v2, 9, v5
	v_cmp_eq_u32_e32 vcc, s15, v13
	s_nop 1
	v_cndmask_b32_e32 v4, v4, v2, vcc
	v_cvt_f64_f32_e32 v[2:3], v6
	v_mul_f64 v[2:3], v[2:3], s[6:7]
	v_and_or_b32 v2, v3, s10, v2
	v_cmp_ne_u32_e32 vcc, 0, v2
	v_lshrrev_b32_e32 v6, 8, v3
	v_bfe_u32 v13, v3, 20, 11
	v_cndmask_b32_e64 v2, 0, 1, vcc
	v_and_or_b32 v2, v6, s14, v2
	v_sub_u32_e32 v16, 0x3f1, v13
	v_or_b32_e32 v6, 0x1000, v2
	v_med3_i32 v16, v16, 0, 13
	v_lshrrev_b32_e32 v17, v16, v6
	v_lshlrev_b32_e32 v16, v16, v17
	v_cmp_ne_u32_e32 vcc, v16, v6
	v_add_u32_e32 v13, 0xfffffc10, v13
	v_lshl_or_b32 v16, v13, 12, v2
	v_cndmask_b32_e64 v6, 0, 1, vcc
	v_or_b32_e32 v6, v17, v6
	v_cmp_gt_i32_e32 vcc, 1, v13
	v_lshrrev_b32_e32 v3, 16, v3
	s_nop 0
	v_cndmask_b32_e32 v6, v16, v6, vcc
	v_and_b32_e32 v16, 7, v6
	v_cmp_lt_i32_e32 vcc, 5, v16
	v_cmp_eq_u32_e64 s[0:1], 3, v16
	v_lshrrev_b32_e32 v6, 2, v6
	s_or_b64 vcc, s[0:1], vcc
	v_addc_co_u32_e32 v6, vcc, 0, v6, vcc
	v_cmp_gt_i32_e32 vcc, 31, v13
	s_nop 1
	v_cndmask_b32_e32 v6, v5, v6, vcc
	v_cmp_ne_u32_e32 vcc, 0, v2
	s_nop 1
	v_cndmask_b32_e64 v2, 0, 1, vcc
	v_lshl_or_b32 v2, v2, 9, v5
	v_cmp_eq_u32_e32 vcc, s15, v13
	s_nop 1
	v_cndmask_b32_e32 v2, v6, v2, vcc
	v_and_or_b32 v2, v3, s16, v2
	v_bitop3_b32 v3, v9, s2, v4 bitop3:0xc8
	v_lshrrev_b32_e32 v6, 16, v21
	v_lshl_or_b32 v2, v2, 16, v3
	s_waitcnt vmcnt(6)
	v_mul_f16_sdwa v3, v6, v10 dst_sel:DWORD dst_unused:UNUSED_PAD src0_sel:DWORD src1_sel:WORD_1
	v_fma_f16 v3, v21, v10, v3
	v_cvt_f32_f16_e32 v3, v3
	v_mov_b32_e32 v4, 0xd8
	v_mad_u64_u32 v[0:1], s[0:1], s8, v4, v[0:1]
	v_add_u32_e32 v1, s3, v1
	global_store_dword v[0:1], v2, off
	v_cvt_f64_f32_e32 v[2:3], v3
	v_mul_f64 v[2:3], v[2:3], s[6:7]
	v_and_or_b32 v2, v3, s10, v2
	v_cmp_ne_u32_e32 vcc, 0, v2
	v_lshrrev_b32_e32 v9, 8, v3
	v_bfe_u32 v13, v3, 20, 11
	v_cndmask_b32_e64 v2, 0, 1, vcc
	v_and_or_b32 v2, v9, s14, v2
	v_sub_u32_e32 v16, 0x3f1, v13
	v_or_b32_e32 v9, 0x1000, v2
	v_med3_i32 v16, v16, 0, 13
	v_lshrrev_b32_e32 v17, v16, v9
	v_lshlrev_b32_e32 v16, v16, v17
	v_cmp_ne_u32_e32 vcc, v16, v9
	v_add_u32_e32 v13, 0xfffffc10, v13
	v_lshl_or_b32 v16, v13, 12, v2
	v_cndmask_b32_e64 v9, 0, 1, vcc
	v_or_b32_e32 v9, v17, v9
	v_cmp_gt_i32_e32 vcc, 1, v13
	s_nop 1
	v_cndmask_b32_e32 v9, v16, v9, vcc
	v_and_b32_e32 v16, 7, v9
	v_cmp_lt_i32_e32 vcc, 5, v16
	v_cmp_eq_u32_e64 s[0:1], 3, v16
	v_lshrrev_b32_e32 v9, 2, v9
	s_or_b64 vcc, s[0:1], vcc
	v_mul_f16_sdwa v16, v21, v10 dst_sel:DWORD dst_unused:UNUSED_PAD src0_sel:DWORD src1_sel:WORD_1
	v_addc_co_u32_e32 v9, vcc, 0, v9, vcc
	v_fma_f16 v6, v10, v6, -v16
	v_cmp_gt_i32_e32 vcc, 31, v13
	v_cvt_f32_f16_e32 v6, v6
	v_and_b32_sdwa v10, v3, s16 dst_sel:DWORD dst_unused:UNUSED_PAD src0_sel:WORD_1 src1_sel:DWORD
	v_cndmask_b32_e32 v9, v5, v9, vcc
	v_cmp_ne_u32_e32 vcc, 0, v2
	s_nop 1
	v_cndmask_b32_e64 v2, 0, 1, vcc
	v_lshl_or_b32 v2, v2, 9, v5
	v_cmp_eq_u32_e32 vcc, s15, v13
	s_nop 1
	v_cndmask_b32_e32 v9, v9, v2, vcc
	v_cvt_f64_f32_e32 v[2:3], v6
	v_mul_f64 v[2:3], v[2:3], s[6:7]
	v_and_or_b32 v2, v3, s10, v2
	v_cmp_ne_u32_e32 vcc, 0, v2
	v_lshrrev_b32_e32 v6, 8, v3
	v_bfe_u32 v13, v3, 20, 11
	v_cndmask_b32_e64 v2, 0, 1, vcc
	v_and_or_b32 v2, v6, s14, v2
	v_sub_u32_e32 v16, 0x3f1, v13
	v_or_b32_e32 v6, 0x1000, v2
	v_med3_i32 v16, v16, 0, 13
	v_lshrrev_b32_e32 v17, v16, v6
	v_lshlrev_b32_e32 v16, v16, v17
	v_cmp_ne_u32_e32 vcc, v16, v6
	v_add_u32_e32 v13, 0xfffffc10, v13
	v_lshl_or_b32 v16, v13, 12, v2
	v_cndmask_b32_e64 v6, 0, 1, vcc
	v_or_b32_e32 v6, v17, v6
	v_cmp_gt_i32_e32 vcc, 1, v13
	v_lshrrev_b32_e32 v3, 16, v3
	s_nop 0
	v_cndmask_b32_e32 v6, v16, v6, vcc
	v_and_b32_e32 v16, 7, v6
	v_cmp_lt_i32_e32 vcc, 5, v16
	v_cmp_eq_u32_e64 s[0:1], 3, v16
	v_lshrrev_b32_e32 v6, 2, v6
	s_or_b64 vcc, s[0:1], vcc
	v_addc_co_u32_e32 v6, vcc, 0, v6, vcc
	v_cmp_gt_i32_e32 vcc, 31, v13
	ds_read2_b32 v[16:17], v7 offset0:162 offset1:216
	v_mad_u64_u32 v[0:1], s[0:1], s8, v4, v[0:1]
	v_cndmask_b32_e32 v6, v5, v6, vcc
	v_cmp_ne_u32_e32 vcc, 0, v2
	v_add_u32_e32 v1, s3, v1
	s_nop 0
	v_cndmask_b32_e64 v2, 0, 1, vcc
	v_lshl_or_b32 v2, v2, 9, v5
	v_cmp_eq_u32_e32 vcc, s15, v13
	s_nop 1
	v_cndmask_b32_e32 v2, v6, v2, vcc
	v_and_or_b32 v2, v3, s16, v2
	v_bitop3_b32 v3, v10, s2, v9 bitop3:0xc8
	s_waitcnt lgkmcnt(0)
	v_lshrrev_b32_e32 v6, 16, v16
	v_lshl_or_b32 v2, v2, 16, v3
	s_waitcnt vmcnt(6)
	v_mul_f16_sdwa v3, v6, v11 dst_sel:DWORD dst_unused:UNUSED_PAD src0_sel:DWORD src1_sel:WORD_1
	v_fma_f16 v3, v16, v11, v3
	v_cvt_f32_f16_e32 v3, v3
	global_store_dword v[0:1], v2, off
	v_cvt_f64_f32_e32 v[2:3], v3
	v_mul_f64 v[2:3], v[2:3], s[6:7]
	v_and_or_b32 v2, v3, s10, v2
	v_cmp_ne_u32_e32 vcc, 0, v2
	v_lshrrev_b32_e32 v9, 8, v3
	v_bfe_u32 v10, v3, 20, 11
	v_cndmask_b32_e64 v2, 0, 1, vcc
	v_and_or_b32 v2, v9, s14, v2
	v_sub_u32_e32 v13, 0x3f1, v10
	v_or_b32_e32 v9, 0x1000, v2
	v_med3_i32 v13, v13, 0, 13
	v_lshrrev_b32_e32 v18, v13, v9
	v_lshlrev_b32_e32 v13, v13, v18
	v_cmp_ne_u32_e32 vcc, v13, v9
	v_add_u32_e32 v10, 0xfffffc10, v10
	v_lshl_or_b32 v13, v10, 12, v2
	v_cndmask_b32_e64 v9, 0, 1, vcc
	v_or_b32_e32 v9, v18, v9
	v_cmp_gt_i32_e32 vcc, 1, v10
	s_nop 1
	v_cndmask_b32_e32 v9, v13, v9, vcc
	v_and_b32_e32 v13, 7, v9
	v_cmp_lt_i32_e32 vcc, 5, v13
	v_cmp_eq_u32_e64 s[0:1], 3, v13
	v_lshrrev_b32_e32 v9, 2, v9
	s_or_b64 vcc, s[0:1], vcc
	v_mul_f16_sdwa v13, v16, v11 dst_sel:DWORD dst_unused:UNUSED_PAD src0_sel:DWORD src1_sel:WORD_1
	v_addc_co_u32_e32 v9, vcc, 0, v9, vcc
	v_fma_f16 v6, v11, v6, -v13
	v_cmp_gt_i32_e32 vcc, 31, v10
	v_cvt_f32_f16_e32 v6, v6
	s_nop 0
	v_cndmask_b32_e32 v9, v5, v9, vcc
	v_cmp_ne_u32_e32 vcc, 0, v2
	s_nop 1
	v_cndmask_b32_e64 v2, 0, 1, vcc
	v_lshl_or_b32 v2, v2, 9, v5
	v_cmp_eq_u32_e32 vcc, s15, v10
	v_and_b32_sdwa v10, v3, s16 dst_sel:DWORD dst_unused:UNUSED_PAD src0_sel:WORD_1 src1_sel:DWORD
	s_nop 0
	v_cndmask_b32_e32 v9, v9, v2, vcc
	v_cvt_f64_f32_e32 v[2:3], v6
	v_mul_f64 v[2:3], v[2:3], s[6:7]
	v_and_or_b32 v2, v3, s10, v2
	v_cmp_ne_u32_e32 vcc, 0, v2
	v_lshrrev_b32_e32 v6, 8, v3
	v_bfe_u32 v11, v3, 20, 11
	v_cndmask_b32_e64 v2, 0, 1, vcc
	v_and_or_b32 v2, v6, s14, v2
	v_sub_u32_e32 v13, 0x3f1, v11
	v_or_b32_e32 v6, 0x1000, v2
	v_med3_i32 v13, v13, 0, 13
	v_lshrrev_b32_e32 v16, v13, v6
	v_lshlrev_b32_e32 v13, v13, v16
	v_cmp_ne_u32_e32 vcc, v13, v6
	v_add_u32_e32 v11, 0xfffffc10, v11
	v_lshl_or_b32 v13, v11, 12, v2
	v_cndmask_b32_e64 v6, 0, 1, vcc
	v_or_b32_e32 v6, v16, v6
	v_cmp_gt_i32_e32 vcc, 1, v11
	v_lshrrev_b32_e32 v3, 16, v3
	s_nop 0
	v_cndmask_b32_e32 v6, v13, v6, vcc
	v_and_b32_e32 v13, 7, v6
	v_cmp_lt_i32_e32 vcc, 5, v13
	v_cmp_eq_u32_e64 s[0:1], 3, v13
	v_lshrrev_b32_e32 v6, 2, v6
	s_or_b64 vcc, s[0:1], vcc
	v_addc_co_u32_e32 v6, vcc, 0, v6, vcc
	v_cmp_gt_i32_e32 vcc, 31, v11
	v_mad_u64_u32 v[0:1], s[0:1], s8, v4, v[0:1]
	s_nop 0
	v_cndmask_b32_e32 v6, v5, v6, vcc
	v_cmp_ne_u32_e32 vcc, 0, v2
	v_add_u32_e32 v1, s3, v1
	s_nop 0
	v_cndmask_b32_e64 v2, 0, 1, vcc
	v_lshl_or_b32 v2, v2, 9, v5
	v_cmp_eq_u32_e32 vcc, s15, v11
	s_nop 1
	v_cndmask_b32_e32 v2, v6, v2, vcc
	v_and_or_b32 v2, v3, s16, v2
	v_bitop3_b32 v3, v10, s2, v9 bitop3:0xc8
	v_lshrrev_b32_e32 v6, 16, v17
	v_lshl_or_b32 v2, v2, 16, v3
	s_waitcnt vmcnt(6)
	v_mul_f16_sdwa v3, v6, v12 dst_sel:DWORD dst_unused:UNUSED_PAD src0_sel:DWORD src1_sel:WORD_1
	v_fma_f16 v3, v17, v12, v3
	v_cvt_f32_f16_e32 v3, v3
	global_store_dword v[0:1], v2, off
	v_cvt_f64_f32_e32 v[2:3], v3
	v_mul_f64 v[2:3], v[2:3], s[6:7]
	v_and_or_b32 v2, v3, s10, v2
	v_cmp_ne_u32_e32 vcc, 0, v2
	v_lshrrev_b32_e32 v9, 8, v3
	v_bfe_u32 v10, v3, 20, 11
	v_cndmask_b32_e64 v2, 0, 1, vcc
	v_and_or_b32 v2, v9, s14, v2
	v_sub_u32_e32 v11, 0x3f1, v10
	v_or_b32_e32 v9, 0x1000, v2
	v_med3_i32 v11, v11, 0, 13
	v_lshrrev_b32_e32 v13, v11, v9
	v_lshlrev_b32_e32 v11, v11, v13
	v_cmp_ne_u32_e32 vcc, v11, v9
	v_add_u32_e32 v10, 0xfffffc10, v10
	v_lshl_or_b32 v11, v10, 12, v2
	v_cndmask_b32_e64 v9, 0, 1, vcc
	v_or_b32_e32 v9, v13, v9
	v_cmp_gt_i32_e32 vcc, 1, v10
	s_nop 1
	v_cndmask_b32_e32 v9, v11, v9, vcc
	v_and_b32_e32 v11, 7, v9
	v_cmp_lt_i32_e32 vcc, 5, v11
	v_cmp_eq_u32_e64 s[0:1], 3, v11
	v_lshrrev_b32_e32 v9, 2, v9
	s_or_b64 vcc, s[0:1], vcc
	v_mul_f16_sdwa v11, v17, v12 dst_sel:DWORD dst_unused:UNUSED_PAD src0_sel:DWORD src1_sel:WORD_1
	v_addc_co_u32_e32 v9, vcc, 0, v9, vcc
	v_fma_f16 v6, v12, v6, -v11
	v_cmp_gt_i32_e32 vcc, 31, v10
	v_cvt_f32_f16_e32 v6, v6
	v_and_b32_sdwa v12, v3, s16 dst_sel:DWORD dst_unused:UNUSED_PAD src0_sel:WORD_1 src1_sel:DWORD
	v_cndmask_b32_e32 v9, v5, v9, vcc
	v_cmp_ne_u32_e32 vcc, 0, v2
	s_nop 1
	v_cndmask_b32_e64 v2, 0, 1, vcc
	v_lshl_or_b32 v2, v2, 9, v5
	v_cmp_eq_u32_e32 vcc, s15, v10
	s_nop 1
	v_cndmask_b32_e32 v9, v9, v2, vcc
	v_cvt_f64_f32_e32 v[2:3], v6
	v_mul_f64 v[2:3], v[2:3], s[6:7]
	v_and_or_b32 v2, v3, s10, v2
	v_cmp_ne_u32_e32 vcc, 0, v2
	v_lshrrev_b32_e32 v6, 8, v3
	v_bfe_u32 v10, v3, 20, 11
	v_cndmask_b32_e64 v2, 0, 1, vcc
	v_and_or_b32 v2, v6, s14, v2
	v_sub_u32_e32 v11, 0x3f1, v10
	v_or_b32_e32 v6, 0x1000, v2
	v_med3_i32 v11, v11, 0, 13
	v_lshrrev_b32_e32 v13, v11, v6
	v_lshlrev_b32_e32 v11, v11, v13
	v_cmp_ne_u32_e32 vcc, v11, v6
	v_add_u32_e32 v10, 0xfffffc10, v10
	v_lshl_or_b32 v11, v10, 12, v2
	v_cndmask_b32_e64 v6, 0, 1, vcc
	v_or_b32_e32 v6, v13, v6
	v_cmp_gt_i32_e32 vcc, 1, v10
	v_lshrrev_b32_e32 v3, 16, v3
	s_nop 0
	v_cndmask_b32_e32 v6, v11, v6, vcc
	v_and_b32_e32 v11, 7, v6
	v_cmp_lt_i32_e32 vcc, 5, v11
	v_cmp_eq_u32_e64 s[0:1], 3, v11
	v_lshrrev_b32_e32 v6, 2, v6
	s_or_b64 vcc, s[0:1], vcc
	v_addc_co_u32_e32 v6, vcc, 0, v6, vcc
	v_cmp_gt_i32_e32 vcc, 31, v10
	v_mad_u64_u32 v[0:1], s[0:1], s8, v4, v[0:1]
	s_nop 0
	v_cndmask_b32_e32 v6, v5, v6, vcc
	v_cmp_ne_u32_e32 vcc, 0, v2
	v_add_u32_e32 v1, s3, v1
	s_nop 0
	v_cndmask_b32_e64 v2, 0, 1, vcc
	v_lshl_or_b32 v2, v2, 9, v5
	v_cmp_eq_u32_e32 vcc, s15, v10
	s_nop 1
	v_cndmask_b32_e32 v2, v6, v2, vcc
	v_add_u32_e32 v6, 0x400, v7
	ds_read2_b32 v[10:11], v6 offset0:14 offset1:68
	v_and_or_b32 v2, v3, s16, v2
	v_bitop3_b32 v3, v12, s2, v9 bitop3:0xc8
	v_lshl_or_b32 v2, v2, 16, v3
	global_store_dword v[0:1], v2, off
	s_waitcnt lgkmcnt(0)
	v_lshrrev_b32_e32 v9, 16, v10
	s_waitcnt vmcnt(7)
	v_mul_f16_sdwa v3, v9, v14 dst_sel:DWORD dst_unused:UNUSED_PAD src0_sel:DWORD src1_sel:WORD_1
	v_fma_f16 v3, v10, v14, v3
	v_cvt_f32_f16_e32 v3, v3
	v_mul_f16_sdwa v10, v10, v14 dst_sel:DWORD dst_unused:UNUSED_PAD src0_sel:DWORD src1_sel:WORD_1
	v_fma_f16 v9, v14, v9, -v10
	v_cvt_f32_f16_e32 v9, v9
	v_cvt_f64_f32_e32 v[2:3], v3
	v_mul_f64 v[2:3], v[2:3], s[6:7]
	v_and_or_b32 v2, v3, s10, v2
	v_cmp_ne_u32_e32 vcc, 0, v2
	v_lshrrev_b32_e32 v12, 8, v3
	v_bfe_u32 v13, v3, 20, 11
	v_cndmask_b32_e64 v2, 0, 1, vcc
	v_and_or_b32 v2, v12, s14, v2
	v_sub_u32_e32 v16, 0x3f1, v13
	v_or_b32_e32 v12, 0x1000, v2
	v_med3_i32 v16, v16, 0, 13
	v_lshrrev_b32_e32 v17, v16, v12
	v_lshlrev_b32_e32 v16, v16, v17
	v_cmp_ne_u32_e32 vcc, v16, v12
	v_add_u32_e32 v13, 0xfffffc10, v13
	v_lshl_or_b32 v16, v13, 12, v2
	v_cndmask_b32_e64 v12, 0, 1, vcc
	v_or_b32_e32 v12, v17, v12
	v_cmp_gt_i32_e32 vcc, 1, v13
	s_nop 1
	v_cndmask_b32_e32 v12, v16, v12, vcc
	v_and_b32_e32 v16, 7, v12
	v_cmp_lt_i32_e32 vcc, 5, v16
	v_cmp_eq_u32_e64 s[0:1], 3, v16
	v_lshrrev_b32_e32 v12, 2, v12
	s_or_b64 vcc, s[0:1], vcc
	v_addc_co_u32_e32 v12, vcc, 0, v12, vcc
	v_cmp_gt_i32_e32 vcc, 31, v13
	s_nop 1
	v_cndmask_b32_e32 v12, v5, v12, vcc
	v_cmp_ne_u32_e32 vcc, 0, v2
	s_nop 1
	v_cndmask_b32_e64 v2, 0, 1, vcc
	v_lshl_or_b32 v2, v2, 9, v5
	v_cmp_eq_u32_e32 vcc, s15, v13
	s_nop 1
	v_cndmask_b32_e32 v10, v12, v2, vcc
	v_and_b32_sdwa v12, v3, s16 dst_sel:DWORD dst_unused:UNUSED_PAD src0_sel:WORD_1 src1_sel:DWORD
	v_cvt_f64_f32_e32 v[2:3], v9
	v_mul_f64 v[2:3], v[2:3], s[6:7]
	v_and_or_b32 v2, v3, s10, v2
	v_cmp_ne_u32_e32 vcc, 0, v2
	v_lshrrev_b32_e32 v9, 8, v3
	v_bfe_u32 v13, v3, 20, 11
	v_cndmask_b32_e64 v2, 0, 1, vcc
	v_and_or_b32 v2, v9, s14, v2
	v_sub_u32_e32 v14, 0x3f1, v13
	v_or_b32_e32 v9, 0x1000, v2
	v_med3_i32 v14, v14, 0, 13
	v_lshrrev_b32_e32 v16, v14, v9
	v_lshlrev_b32_e32 v14, v14, v16
	v_cmp_ne_u32_e32 vcc, v14, v9
	v_add_u32_e32 v13, 0xfffffc10, v13
	v_lshl_or_b32 v14, v13, 12, v2
	v_cndmask_b32_e64 v9, 0, 1, vcc
	v_or_b32_e32 v9, v16, v9
	v_cmp_gt_i32_e32 vcc, 1, v13
	v_lshrrev_b32_e32 v3, 16, v3
	s_nop 0
	v_cndmask_b32_e32 v9, v14, v9, vcc
	v_and_b32_e32 v14, 7, v9
	v_cmp_lt_i32_e32 vcc, 5, v14
	v_cmp_eq_u32_e64 s[0:1], 3, v14
	v_lshrrev_b32_e32 v9, 2, v9
	s_or_b64 vcc, s[0:1], vcc
	v_addc_co_u32_e32 v9, vcc, 0, v9, vcc
	v_cmp_gt_i32_e32 vcc, 31, v13
	s_nop 1
	v_cndmask_b32_e32 v9, v5, v9, vcc
	v_cmp_ne_u32_e32 vcc, 0, v2
	s_nop 1
	v_cndmask_b32_e64 v2, 0, 1, vcc
	v_lshl_or_b32 v2, v2, 9, v5
	v_cmp_eq_u32_e32 vcc, s15, v13
	s_nop 1
	v_cndmask_b32_e32 v2, v9, v2, vcc
	v_and_or_b32 v2, v3, s16, v2
	v_bitop3_b32 v3, v12, s2, v10 bitop3:0xc8
	v_lshrrev_b32_e32 v10, 16, v11
	v_lshl_or_b32 v9, v2, 16, v3
	s_waitcnt vmcnt(6)
	v_mul_f16_sdwa v2, v10, v15 dst_sel:DWORD dst_unused:UNUSED_PAD src0_sel:DWORD src1_sel:WORD_1
	v_fma_f16 v2, v11, v15, v2
	v_cvt_f32_f16_e32 v12, v2
	v_mad_u64_u32 v[2:3], s[0:1], s8, v4, v[0:1]
	v_add_u32_e32 v3, s3, v3
	v_cvt_f64_f32_e32 v[0:1], v12
	v_mul_f64 v[0:1], v[0:1], s[6:7]
	v_and_or_b32 v0, v1, s10, v0
	v_cmp_ne_u32_e32 vcc, 0, v0
	global_store_dword v[2:3], v9, off
	v_lshrrev_b32_e32 v9, 8, v1
	v_cndmask_b32_e64 v0, 0, 1, vcc
	v_bfe_u32 v12, v1, 20, 11
	v_and_or_b32 v0, v9, s14, v0
	v_sub_u32_e32 v13, 0x3f1, v12
	v_or_b32_e32 v9, 0x1000, v0
	v_med3_i32 v13, v13, 0, 13
	v_lshrrev_b32_e32 v14, v13, v9
	v_lshlrev_b32_e32 v13, v13, v14
	v_cmp_ne_u32_e32 vcc, v13, v9
	v_add_u32_e32 v12, 0xfffffc10, v12
	v_lshl_or_b32 v13, v12, 12, v0
	v_cndmask_b32_e64 v9, 0, 1, vcc
	v_or_b32_e32 v9, v14, v9
	v_cmp_gt_i32_e32 vcc, 1, v12
	v_mul_f16_sdwa v11, v11, v15 dst_sel:DWORD dst_unused:UNUSED_PAD src0_sel:DWORD src1_sel:WORD_1
	v_fma_f16 v10, v15, v10, -v11
	v_cndmask_b32_e32 v9, v13, v9, vcc
	v_and_b32_e32 v13, 7, v9
	v_cmp_lt_i32_e32 vcc, 5, v13
	v_cmp_eq_u32_e64 s[0:1], 3, v13
	v_lshrrev_b32_e32 v9, 2, v9
	s_or_b64 vcc, s[0:1], vcc
	v_addc_co_u32_e32 v9, vcc, 0, v9, vcc
	v_cmp_gt_i32_e32 vcc, 31, v12
	v_cvt_f32_f16_e32 v10, v10
	v_and_b32_sdwa v11, v1, s16 dst_sel:DWORD dst_unused:UNUSED_PAD src0_sel:WORD_1 src1_sel:DWORD
	v_cndmask_b32_e32 v9, v5, v9, vcc
	v_cmp_ne_u32_e32 vcc, 0, v0
	s_nop 1
	v_cndmask_b32_e64 v0, 0, 1, vcc
	v_lshl_or_b32 v0, v0, 9, v5
	v_cmp_eq_u32_e32 vcc, s15, v12
	s_nop 1
	v_cndmask_b32_e32 v9, v9, v0, vcc
	v_cvt_f64_f32_e32 v[0:1], v10
	v_mul_f64 v[0:1], v[0:1], s[6:7]
	v_and_or_b32 v0, v1, s10, v0
	v_cmp_ne_u32_e32 vcc, 0, v0
	v_lshrrev_b32_e32 v10, 8, v1
	v_bfe_u32 v12, v1, 20, 11
	v_cndmask_b32_e64 v0, 0, 1, vcc
	v_and_or_b32 v0, v10, s14, v0
	v_sub_u32_e32 v13, 0x3f1, v12
	v_or_b32_e32 v10, 0x1000, v0
	v_med3_i32 v13, v13, 0, 13
	v_lshrrev_b32_e32 v14, v13, v10
	v_lshlrev_b32_e32 v13, v13, v14
	v_cmp_ne_u32_e32 vcc, v13, v10
	v_add_u32_e32 v12, 0xfffffc10, v12
	v_lshl_or_b32 v13, v12, 12, v0
	v_cndmask_b32_e64 v10, 0, 1, vcc
	v_or_b32_e32 v10, v14, v10
	v_cmp_gt_i32_e32 vcc, 1, v12
	v_lshrrev_b32_e32 v1, 16, v1
	s_nop 0
	v_cndmask_b32_e32 v10, v13, v10, vcc
	v_and_b32_e32 v13, 7, v10
	v_cmp_lt_i32_e32 vcc, 5, v13
	v_cmp_eq_u32_e64 s[0:1], 3, v13
	v_lshrrev_b32_e32 v10, 2, v10
	s_or_b64 vcc, s[0:1], vcc
	v_addc_co_u32_e32 v10, vcc, 0, v10, vcc
	v_cmp_gt_i32_e32 vcc, 31, v12
	v_mad_u64_u32 v[2:3], s[0:1], s8, v4, v[2:3]
	s_nop 0
	v_cndmask_b32_e32 v10, v5, v10, vcc
	v_cmp_ne_u32_e32 vcc, 0, v0
	v_add_u32_e32 v3, s3, v3
	s_nop 0
	v_cndmask_b32_e64 v0, 0, 1, vcc
	v_lshl_or_b32 v0, v0, 9, v5
	v_cmp_eq_u32_e32 vcc, s15, v12
	s_nop 1
	v_cndmask_b32_e32 v0, v10, v0, vcc
	v_and_or_b32 v10, v1, s16, v0
	ds_read2_b32 v[0:1], v6 offset0:122 offset1:176
	v_bitop3_b32 v6, v11, s2, v9 bitop3:0xc8
	v_lshl_or_b32 v6, v10, 16, v6
	global_store_dword v[2:3], v6, off
	global_load_dword v6, v7, s[12:13] offset:1728
	s_waitcnt lgkmcnt(0)
	v_lshrrev_b32_e32 v9, 16, v0
	s_waitcnt vmcnt(8)
	v_mul_f16_sdwa v10, v9, v8 dst_sel:DWORD dst_unused:UNUSED_PAD src0_sel:DWORD src1_sel:WORD_1
	v_fma_f16 v10, v0, v8, v10
	v_cvt_f32_f16_e32 v10, v10
	v_mul_f16_sdwa v0, v0, v8 dst_sel:DWORD dst_unused:UNUSED_PAD src0_sel:DWORD src1_sel:WORD_1
	v_fma_f16 v0, v8, v9, -v0
	v_cvt_f32_f16_e32 v0, v0
	v_cvt_f64_f32_e32 v[10:11], v10
	v_mul_f64 v[10:11], v[10:11], s[6:7]
	v_and_or_b32 v10, v11, s10, v10
	v_cmp_ne_u32_e32 vcc, 0, v10
	v_lshrrev_b32_e32 v12, 8, v11
	v_bfe_u32 v13, v11, 20, 11
	v_cndmask_b32_e64 v10, 0, 1, vcc
	v_and_or_b32 v10, v12, s14, v10
	v_sub_u32_e32 v14, 0x3f1, v13
	v_or_b32_e32 v12, 0x1000, v10
	v_med3_i32 v14, v14, 0, 13
	v_lshrrev_b32_e32 v15, v14, v12
	v_lshlrev_b32_e32 v14, v14, v15
	v_cmp_ne_u32_e32 vcc, v14, v12
	v_add_u32_e32 v13, 0xfffffc10, v13
	v_lshl_or_b32 v14, v13, 12, v10
	v_cndmask_b32_e64 v12, 0, 1, vcc
	v_or_b32_e32 v12, v15, v12
	v_cmp_gt_i32_e32 vcc, 1, v13
	v_cvt_f64_f32_e32 v[8:9], v0
	v_mul_f64 v[8:9], v[8:9], s[6:7]
	v_cndmask_b32_e32 v12, v14, v12, vcc
	v_and_b32_e32 v14, 7, v12
	v_cmp_lt_i32_e32 vcc, 5, v14
	v_cmp_eq_u32_e64 s[0:1], 3, v14
	v_lshrrev_b32_e32 v12, 2, v12
	s_or_b64 vcc, s[0:1], vcc
	v_addc_co_u32_e32 v12, vcc, 0, v12, vcc
	v_cmp_gt_i32_e32 vcc, 31, v13
	v_and_or_b32 v0, v9, s10, v8
	v_lshrrev_b32_e32 v8, 8, v9
	v_cndmask_b32_e32 v12, v5, v12, vcc
	v_cmp_ne_u32_e32 vcc, 0, v10
	v_and_b32_sdwa v11, v11, s16 dst_sel:DWORD dst_unused:UNUSED_PAD src0_sel:WORD_1 src1_sel:DWORD
	s_nop 0
	v_cndmask_b32_e64 v10, 0, 1, vcc
	v_lshl_or_b32 v10, v10, 9, v5
	v_cmp_eq_u32_e32 vcc, s15, v13
	s_nop 1
	v_cndmask_b32_e32 v10, v12, v10, vcc
	v_cmp_ne_u32_e32 vcc, 0, v0
	v_bfe_u32 v12, v9, 20, 11
	v_sub_u32_e32 v13, 0x3f1, v12
	v_cndmask_b32_e64 v0, 0, 1, vcc
	v_and_or_b32 v0, v8, s14, v0
	v_or_b32_e32 v8, 0x1000, v0
	v_med3_i32 v13, v13, 0, 13
	v_lshrrev_b32_e32 v14, v13, v8
	v_lshlrev_b32_e32 v13, v13, v14
	v_cmp_ne_u32_e32 vcc, v13, v8
	v_add_u32_e32 v12, 0xfffffc10, v12
	v_lshl_or_b32 v13, v12, 12, v0
	v_cndmask_b32_e64 v8, 0, 1, vcc
	v_or_b32_e32 v8, v14, v8
	v_cmp_gt_i32_e32 vcc, 1, v12
	s_nop 1
	v_cndmask_b32_e32 v8, v13, v8, vcc
	v_and_b32_e32 v13, 7, v8
	v_cmp_lt_i32_e32 vcc, 5, v13
	v_cmp_eq_u32_e64 s[0:1], 3, v13
	v_lshrrev_b32_e32 v8, 2, v8
	s_or_b64 vcc, s[0:1], vcc
	v_addc_co_u32_e32 v8, vcc, 0, v8, vcc
	v_cmp_gt_i32_e32 vcc, 31, v12
	v_mad_u64_u32 v[2:3], s[0:1], s8, v4, v[2:3]
	s_nop 0
	v_cndmask_b32_e32 v8, v5, v8, vcc
	v_cmp_ne_u32_e32 vcc, 0, v0
	v_add_u32_e32 v3, s3, v3
	s_nop 0
	v_cndmask_b32_e64 v0, 0, 1, vcc
	v_lshl_or_b32 v0, v0, 9, v5
	v_cmp_eq_u32_e32 vcc, s15, v12
	s_nop 1
	v_cndmask_b32_e32 v0, v8, v0, vcc
	v_lshrrev_b32_e32 v8, 16, v9
	v_and_or_b32 v0, v8, s16, v0
	v_bitop3_b32 v8, v11, s2, v10 bitop3:0xc8
	global_load_dword v11, v7, s[12:13] offset:1944
	global_load_dword v12, v7, s[12:13] offset:2160
	v_lshrrev_b32_e32 v10, 16, v1
	v_lshl_or_b32 v0, v0, 16, v8
	s_waitcnt vmcnt(2)
	v_mul_f16_sdwa v8, v10, v6 dst_sel:DWORD dst_unused:UNUSED_PAD src0_sel:DWORD src1_sel:WORD_1
	v_fma_f16 v8, v1, v6, v8
	v_cvt_f32_f16_e32 v8, v8
	global_store_dword v[2:3], v0, off
	v_mul_f16_sdwa v1, v1, v6 dst_sel:DWORD dst_unused:UNUSED_PAD src0_sel:DWORD src1_sel:WORD_1
	v_fma_f16 v1, v6, v10, -v1
	v_cvt_f64_f32_e32 v[8:9], v8
	v_mul_f64 v[8:9], v[8:9], s[6:7]
	v_and_or_b32 v0, v9, s10, v8
	v_cmp_ne_u32_e32 vcc, 0, v0
	v_lshrrev_b32_e32 v8, 8, v9
	v_bfe_u32 v13, v9, 20, 11
	v_cndmask_b32_e64 v0, 0, 1, vcc
	v_and_or_b32 v0, v8, s14, v0
	v_sub_u32_e32 v14, 0x3f1, v13
	v_or_b32_e32 v8, 0x1000, v0
	v_med3_i32 v14, v14, 0, 13
	v_lshrrev_b32_e32 v15, v14, v8
	v_lshlrev_b32_e32 v14, v14, v15
	v_cmp_ne_u32_e32 vcc, v14, v8
	v_add_u32_e32 v13, 0xfffffc10, v13
	v_lshl_or_b32 v14, v13, 12, v0
	v_cndmask_b32_e64 v8, 0, 1, vcc
	v_or_b32_e32 v8, v15, v8
	v_cmp_gt_i32_e32 vcc, 1, v13
	v_cvt_f32_f16_e32 v1, v1
	v_and_b32_sdwa v9, v9, s16 dst_sel:DWORD dst_unused:UNUSED_PAD src0_sel:WORD_1 src1_sel:DWORD
	v_cndmask_b32_e32 v8, v14, v8, vcc
	v_and_b32_e32 v14, 7, v8
	v_cmp_lt_i32_e32 vcc, 5, v14
	v_cmp_eq_u32_e64 s[0:1], 3, v14
	v_lshrrev_b32_e32 v8, 2, v8
	s_or_b64 vcc, s[0:1], vcc
	v_addc_co_u32_e32 v8, vcc, 0, v8, vcc
	v_cmp_gt_i32_e32 vcc, 31, v13
	s_nop 1
	v_cndmask_b32_e32 v8, v5, v8, vcc
	v_cmp_ne_u32_e32 vcc, 0, v0
	s_nop 1
	v_cndmask_b32_e64 v0, 0, 1, vcc
	v_lshl_or_b32 v0, v0, 9, v5
	v_cmp_eq_u32_e32 vcc, s15, v13
	s_nop 1
	v_cndmask_b32_e32 v8, v8, v0, vcc
	v_cvt_f64_f32_e32 v[0:1], v1
	v_mul_f64 v[0:1], v[0:1], s[6:7]
	v_and_or_b32 v0, v1, s10, v0
	v_cmp_ne_u32_e32 vcc, 0, v0
	v_lshrrev_b32_e32 v6, 8, v1
	v_bfe_u32 v10, v1, 20, 11
	v_cndmask_b32_e64 v0, 0, 1, vcc
	v_and_or_b32 v0, v6, s14, v0
	v_sub_u32_e32 v13, 0x3f1, v10
	v_or_b32_e32 v6, 0x1000, v0
	v_med3_i32 v13, v13, 0, 13
	v_lshrrev_b32_e32 v14, v13, v6
	v_lshlrev_b32_e32 v13, v13, v14
	v_cmp_ne_u32_e32 vcc, v13, v6
	v_add_u32_e32 v10, 0xfffffc10, v10
	v_lshl_or_b32 v13, v10, 12, v0
	v_cndmask_b32_e64 v6, 0, 1, vcc
	v_or_b32_e32 v6, v14, v6
	v_cmp_gt_i32_e32 vcc, 1, v10
	v_lshrrev_b32_e32 v1, 16, v1
	s_nop 0
	v_cndmask_b32_e32 v6, v13, v6, vcc
	v_and_b32_e32 v13, 7, v6
	v_cmp_lt_i32_e32 vcc, 5, v13
	v_cmp_eq_u32_e64 s[0:1], 3, v13
	v_lshrrev_b32_e32 v6, 2, v6
	s_or_b64 vcc, s[0:1], vcc
	v_addc_co_u32_e32 v6, vcc, 0, v6, vcc
	v_cmp_gt_i32_e32 vcc, 31, v10
	s_nop 1
	v_cndmask_b32_e32 v6, v5, v6, vcc
	v_cmp_ne_u32_e32 vcc, 0, v0
	s_nop 1
	v_cndmask_b32_e64 v0, 0, 1, vcc
	v_lshl_or_b32 v0, v0, 9, v5
	v_cmp_eq_u32_e32 vcc, s15, v10
	s_nop 1
	v_cndmask_b32_e32 v0, v6, v0, vcc
	v_add_u32_e32 v6, 0x600, v7
	ds_read2_b32 v[6:7], v6 offset0:102 offset1:156
	v_and_or_b32 v0, v1, s16, v0
	v_bitop3_b32 v1, v9, s2, v8 bitop3:0xc8
	v_lshl_or_b32 v8, v0, 16, v1
	s_waitcnt lgkmcnt(0)
	v_lshrrev_b32_e32 v9, 16, v6
	s_waitcnt vmcnt(2)
	v_mul_f16_sdwa v0, v9, v11 dst_sel:DWORD dst_unused:UNUSED_PAD src0_sel:DWORD src1_sel:WORD_1
	v_fma_f16 v0, v6, v11, v0
	v_cvt_f32_f16_e32 v10, v0
	v_mad_u64_u32 v[0:1], s[0:1], s8, v4, v[2:3]
	v_add_u32_e32 v1, s3, v1
	v_cvt_f64_f32_e32 v[2:3], v10
	v_mul_f64 v[2:3], v[2:3], s[6:7]
	v_and_or_b32 v2, v3, s10, v2
	v_cmp_ne_u32_e32 vcc, 0, v2
	global_store_dword v[0:1], v8, off
	v_lshrrev_b32_e32 v8, 8, v3
	v_cndmask_b32_e64 v2, 0, 1, vcc
	v_bfe_u32 v10, v3, 20, 11
	v_and_or_b32 v2, v8, s14, v2
	v_sub_u32_e32 v13, 0x3f1, v10
	v_or_b32_e32 v8, 0x1000, v2
	v_med3_i32 v13, v13, 0, 13
	v_lshrrev_b32_e32 v14, v13, v8
	v_lshlrev_b32_e32 v13, v13, v14
	v_cmp_ne_u32_e32 vcc, v13, v8
	v_add_u32_e32 v10, 0xfffffc10, v10
	v_lshl_or_b32 v13, v10, 12, v2
	v_cndmask_b32_e64 v8, 0, 1, vcc
	v_or_b32_e32 v8, v14, v8
	v_cmp_gt_i32_e32 vcc, 1, v10
	v_mul_f16_sdwa v6, v6, v11 dst_sel:DWORD dst_unused:UNUSED_PAD src0_sel:DWORD src1_sel:WORD_1
	v_fma_f16 v6, v11, v9, -v6
	v_cndmask_b32_e32 v8, v13, v8, vcc
	v_and_b32_e32 v13, 7, v8
	v_cmp_lt_i32_e32 vcc, 5, v13
	v_cmp_eq_u32_e64 s[0:1], 3, v13
	v_lshrrev_b32_e32 v8, 2, v8
	s_or_b64 vcc, s[0:1], vcc
	v_addc_co_u32_e32 v8, vcc, 0, v8, vcc
	v_cmp_gt_i32_e32 vcc, 31, v10
	v_cvt_f32_f16_e32 v6, v6
	v_and_b32_sdwa v9, v3, s16 dst_sel:DWORD dst_unused:UNUSED_PAD src0_sel:WORD_1 src1_sel:DWORD
	v_cndmask_b32_e32 v8, v5, v8, vcc
	v_cmp_ne_u32_e32 vcc, 0, v2
	s_nop 1
	v_cndmask_b32_e64 v2, 0, 1, vcc
	v_lshl_or_b32 v2, v2, 9, v5
	v_cmp_eq_u32_e32 vcc, s15, v10
	s_nop 1
	v_cndmask_b32_e32 v8, v8, v2, vcc
	v_cvt_f64_f32_e32 v[2:3], v6
	v_mul_f64 v[2:3], v[2:3], s[6:7]
	v_and_or_b32 v2, v3, s10, v2
	v_cmp_ne_u32_e32 vcc, 0, v2
	v_lshrrev_b32_e32 v6, 8, v3
	v_bfe_u32 v10, v3, 20, 11
	v_cndmask_b32_e64 v2, 0, 1, vcc
	v_and_or_b32 v2, v6, s14, v2
	v_sub_u32_e32 v11, 0x3f1, v10
	v_or_b32_e32 v6, 0x1000, v2
	v_med3_i32 v11, v11, 0, 13
	v_lshrrev_b32_e32 v13, v11, v6
	v_lshlrev_b32_e32 v11, v11, v13
	v_cmp_ne_u32_e32 vcc, v11, v6
	v_add_u32_e32 v10, 0xfffffc10, v10
	v_lshl_or_b32 v11, v10, 12, v2
	v_cndmask_b32_e64 v6, 0, 1, vcc
	v_or_b32_e32 v6, v13, v6
	v_cmp_gt_i32_e32 vcc, 1, v10
	v_lshrrev_b32_e32 v3, 16, v3
	s_nop 0
	v_cndmask_b32_e32 v6, v11, v6, vcc
	v_and_b32_e32 v11, 7, v6
	v_cmp_lt_i32_e32 vcc, 5, v11
	v_cmp_eq_u32_e64 s[0:1], 3, v11
	v_lshrrev_b32_e32 v6, 2, v6
	s_or_b64 vcc, s[0:1], vcc
	v_addc_co_u32_e32 v6, vcc, 0, v6, vcc
	v_cmp_gt_i32_e32 vcc, 31, v10
	v_mad_u64_u32 v[0:1], s[0:1], s8, v4, v[0:1]
	s_nop 0
	v_cndmask_b32_e32 v6, v5, v6, vcc
	v_cmp_ne_u32_e32 vcc, 0, v2
	v_add_u32_e32 v1, s3, v1
	s_nop 0
	v_cndmask_b32_e64 v2, 0, 1, vcc
	v_lshl_or_b32 v2, v2, 9, v5
	v_cmp_eq_u32_e32 vcc, s15, v10
	s_nop 1
	v_cndmask_b32_e32 v2, v6, v2, vcc
	v_and_or_b32 v2, v3, s16, v2
	v_bitop3_b32 v3, v9, s2, v8 bitop3:0xc8
	v_lshrrev_b32_e32 v6, 16, v7
	v_lshl_or_b32 v2, v2, 16, v3
	s_waitcnt vmcnt(2)
	v_mul_f16_sdwa v3, v6, v12 dst_sel:DWORD dst_unused:UNUSED_PAD src0_sel:DWORD src1_sel:WORD_1
	v_fma_f16 v3, v7, v12, v3
	v_cvt_f32_f16_e32 v3, v3
	global_store_dword v[0:1], v2, off
	v_mul_f16_sdwa v7, v7, v12 dst_sel:DWORD dst_unused:UNUSED_PAD src0_sel:DWORD src1_sel:WORD_1
	v_fma_f16 v6, v12, v6, -v7
	v_cvt_f64_f32_e32 v[2:3], v3
	v_mul_f64 v[2:3], v[2:3], s[6:7]
	v_and_or_b32 v2, v3, s10, v2
	v_cmp_ne_u32_e32 vcc, 0, v2
	v_lshrrev_b32_e32 v8, 8, v3
	v_bfe_u32 v9, v3, 20, 11
	v_cndmask_b32_e64 v2, 0, 1, vcc
	v_and_or_b32 v2, v8, s14, v2
	v_sub_u32_e32 v10, 0x3f1, v9
	v_or_b32_e32 v8, 0x1000, v2
	v_med3_i32 v10, v10, 0, 13
	v_lshrrev_b32_e32 v11, v10, v8
	v_lshlrev_b32_e32 v10, v10, v11
	v_cmp_ne_u32_e32 vcc, v10, v8
	v_add_u32_e32 v9, 0xfffffc10, v9
	v_lshl_or_b32 v10, v9, 12, v2
	v_cndmask_b32_e64 v8, 0, 1, vcc
	v_or_b32_e32 v8, v11, v8
	v_cmp_gt_i32_e32 vcc, 1, v9
	v_cvt_f32_f16_e32 v6, v6
	s_nop 0
	v_cndmask_b32_e32 v8, v10, v8, vcc
	v_and_b32_e32 v10, 7, v8
	v_cmp_lt_i32_e32 vcc, 5, v10
	v_cmp_eq_u32_e64 s[0:1], 3, v10
	v_lshrrev_b32_e32 v8, 2, v8
	s_or_b64 vcc, s[0:1], vcc
	v_addc_co_u32_e32 v8, vcc, 0, v8, vcc
	v_cmp_gt_i32_e32 vcc, 31, v9
	s_nop 1
	v_cndmask_b32_e32 v8, v5, v8, vcc
	v_cmp_ne_u32_e32 vcc, 0, v2
	s_nop 1
	v_cndmask_b32_e64 v2, 0, 1, vcc
	v_lshl_or_b32 v2, v2, 9, v5
	v_cmp_eq_u32_e32 vcc, s15, v9
	s_nop 1
	v_cndmask_b32_e32 v7, v8, v2, vcc
	v_and_b32_sdwa v8, v3, s16 dst_sel:DWORD dst_unused:UNUSED_PAD src0_sel:WORD_1 src1_sel:DWORD
	v_cvt_f64_f32_e32 v[2:3], v6
	v_mul_f64 v[2:3], v[2:3], s[6:7]
	v_and_or_b32 v2, v3, s10, v2
	v_cmp_ne_u32_e32 vcc, 0, v2
	v_lshrrev_b32_e32 v6, 8, v3
	v_bfe_u32 v9, v3, 20, 11
	v_cndmask_b32_e64 v2, 0, 1, vcc
	v_and_or_b32 v2, v6, s14, v2
	v_sub_u32_e32 v10, 0x3f1, v9
	v_or_b32_e32 v6, 0x1000, v2
	v_med3_i32 v10, v10, 0, 13
	v_lshrrev_b32_e32 v11, v10, v6
	v_lshlrev_b32_e32 v10, v10, v11
	v_cmp_ne_u32_e32 vcc, v10, v6
	v_add_u32_e32 v9, 0xfffffc10, v9
	v_lshl_or_b32 v10, v9, 12, v2
	v_cndmask_b32_e64 v6, 0, 1, vcc
	v_or_b32_e32 v6, v11, v6
	v_cmp_gt_i32_e32 vcc, 1, v9
	v_lshrrev_b32_e32 v3, 16, v3
	s_nop 0
	v_cndmask_b32_e32 v6, v10, v6, vcc
	v_and_b32_e32 v10, 7, v6
	v_cmp_lt_i32_e32 vcc, 5, v10
	v_cmp_eq_u32_e64 s[0:1], 3, v10
	v_lshrrev_b32_e32 v6, 2, v6
	s_or_b64 vcc, s[0:1], vcc
	v_addc_co_u32_e32 v6, vcc, 0, v6, vcc
	v_cmp_gt_i32_e32 vcc, 31, v9
	v_mad_u64_u32 v[0:1], s[0:1], s8, v4, v[0:1]
	s_nop 0
	v_cndmask_b32_e32 v6, v5, v6, vcc
	v_cmp_ne_u32_e32 vcc, 0, v2
	v_add_u32_e32 v1, s3, v1
	s_nop 0
	v_cndmask_b32_e64 v2, 0, 1, vcc
	v_lshl_or_b32 v2, v2, 9, v5
	v_cmp_eq_u32_e32 vcc, s15, v9
	s_nop 1
	v_cndmask_b32_e32 v2, v6, v2, vcc
	v_and_or_b32 v2, v3, s16, v2
	v_bitop3_b32 v3, v8, s2, v7 bitop3:0xc8
	v_lshl_or_b32 v2, v2, 16, v3
	global_store_dword v[0:1], v2, off
.LBB0_15:
	s_endpgm
	.section	.rodata,"a",@progbits
	.p2align	6, 0x0
	.amdhsa_kernel bluestein_single_back_len594_dim1_half_op_CI_CI
		.amdhsa_group_segment_fixed_size 2376
		.amdhsa_private_segment_fixed_size 0
		.amdhsa_kernarg_size 104
		.amdhsa_user_sgpr_count 2
		.amdhsa_user_sgpr_dispatch_ptr 0
		.amdhsa_user_sgpr_queue_ptr 0
		.amdhsa_user_sgpr_kernarg_segment_ptr 1
		.amdhsa_user_sgpr_dispatch_id 0
		.amdhsa_user_sgpr_kernarg_preload_length 0
		.amdhsa_user_sgpr_kernarg_preload_offset 0
		.amdhsa_user_sgpr_private_segment_size 0
		.amdhsa_uses_dynamic_stack 0
		.amdhsa_enable_private_segment 0
		.amdhsa_system_sgpr_workgroup_id_x 1
		.amdhsa_system_sgpr_workgroup_id_y 0
		.amdhsa_system_sgpr_workgroup_id_z 0
		.amdhsa_system_sgpr_workgroup_info 0
		.amdhsa_system_vgpr_workitem_id 0
		.amdhsa_next_free_vgpr 121
		.amdhsa_next_free_sgpr 25
		.amdhsa_accum_offset 124
		.amdhsa_reserve_vcc 1
		.amdhsa_float_round_mode_32 0
		.amdhsa_float_round_mode_16_64 0
		.amdhsa_float_denorm_mode_32 3
		.amdhsa_float_denorm_mode_16_64 3
		.amdhsa_dx10_clamp 1
		.amdhsa_ieee_mode 1
		.amdhsa_fp16_overflow 0
		.amdhsa_tg_split 0
		.amdhsa_exception_fp_ieee_invalid_op 0
		.amdhsa_exception_fp_denorm_src 0
		.amdhsa_exception_fp_ieee_div_zero 0
		.amdhsa_exception_fp_ieee_overflow 0
		.amdhsa_exception_fp_ieee_underflow 0
		.amdhsa_exception_fp_ieee_inexact 0
		.amdhsa_exception_int_div_zero 0
	.end_amdhsa_kernel
	.text
.Lfunc_end0:
	.size	bluestein_single_back_len594_dim1_half_op_CI_CI, .Lfunc_end0-bluestein_single_back_len594_dim1_half_op_CI_CI
                                        ; -- End function
	.section	.AMDGPU.csdata,"",@progbits
; Kernel info:
; codeLenInByte = 15596
; NumSgprs: 31
; NumVgprs: 121
; NumAgprs: 0
; TotalNumVgprs: 121
; ScratchSize: 0
; MemoryBound: 0
; FloatMode: 240
; IeeeMode: 1
; LDSByteSize: 2376 bytes/workgroup (compile time only)
; SGPRBlocks: 3
; VGPRBlocks: 15
; NumSGPRsForWavesPerEU: 31
; NumVGPRsForWavesPerEU: 121
; AccumOffset: 124
; Occupancy: 4
; WaveLimiterHint : 1
; COMPUTE_PGM_RSRC2:SCRATCH_EN: 0
; COMPUTE_PGM_RSRC2:USER_SGPR: 2
; COMPUTE_PGM_RSRC2:TRAP_HANDLER: 0
; COMPUTE_PGM_RSRC2:TGID_X_EN: 1
; COMPUTE_PGM_RSRC2:TGID_Y_EN: 0
; COMPUTE_PGM_RSRC2:TGID_Z_EN: 0
; COMPUTE_PGM_RSRC2:TIDIG_COMP_CNT: 0
; COMPUTE_PGM_RSRC3_GFX90A:ACCUM_OFFSET: 30
; COMPUTE_PGM_RSRC3_GFX90A:TG_SPLIT: 0
	.text
	.p2alignl 6, 3212836864
	.fill 256, 4, 3212836864
	.type	__hip_cuid_a9640ee250925876,@object ; @__hip_cuid_a9640ee250925876
	.section	.bss,"aw",@nobits
	.globl	__hip_cuid_a9640ee250925876
__hip_cuid_a9640ee250925876:
	.byte	0                               ; 0x0
	.size	__hip_cuid_a9640ee250925876, 1

	.ident	"AMD clang version 19.0.0git (https://github.com/RadeonOpenCompute/llvm-project roc-6.4.0 25133 c7fe45cf4b819c5991fe208aaa96edf142730f1d)"
	.section	".note.GNU-stack","",@progbits
	.addrsig
	.addrsig_sym __hip_cuid_a9640ee250925876
	.amdgpu_metadata
---
amdhsa.kernels:
  - .agpr_count:     0
    .args:
      - .actual_access:  read_only
        .address_space:  global
        .offset:         0
        .size:           8
        .value_kind:     global_buffer
      - .actual_access:  read_only
        .address_space:  global
        .offset:         8
        .size:           8
        .value_kind:     global_buffer
      - .actual_access:  read_only
        .address_space:  global
        .offset:         16
        .size:           8
        .value_kind:     global_buffer
      - .actual_access:  read_only
        .address_space:  global
        .offset:         24
        .size:           8
        .value_kind:     global_buffer
      - .actual_access:  read_only
        .address_space:  global
        .offset:         32
        .size:           8
        .value_kind:     global_buffer
      - .offset:         40
        .size:           8
        .value_kind:     by_value
      - .address_space:  global
        .offset:         48
        .size:           8
        .value_kind:     global_buffer
      - .address_space:  global
        .offset:         56
        .size:           8
        .value_kind:     global_buffer
      - .address_space:  global
        .offset:         64
        .size:           8
        .value_kind:     global_buffer
      - .address_space:  global
        .offset:         72
        .size:           8
        .value_kind:     global_buffer
      - .offset:         80
        .size:           4
        .value_kind:     by_value
      - .address_space:  global
        .offset:         88
        .size:           8
        .value_kind:     global_buffer
      - .address_space:  global
        .offset:         96
        .size:           8
        .value_kind:     global_buffer
    .group_segment_fixed_size: 2376
    .kernarg_segment_align: 8
    .kernarg_segment_size: 104
    .language:       OpenCL C
    .language_version:
      - 2
      - 0
    .max_flat_workgroup_size: 99
    .name:           bluestein_single_back_len594_dim1_half_op_CI_CI
    .private_segment_fixed_size: 0
    .sgpr_count:     31
    .sgpr_spill_count: 0
    .symbol:         bluestein_single_back_len594_dim1_half_op_CI_CI.kd
    .uniform_work_group_size: 1
    .uses_dynamic_stack: false
    .vgpr_count:     121
    .vgpr_spill_count: 0
    .wavefront_size: 64
amdhsa.target:   amdgcn-amd-amdhsa--gfx950
amdhsa.version:
  - 1
  - 2
...

	.end_amdgpu_metadata
